;; amdgpu-corpus repo=ROCm/rocFFT kind=compiled arch=gfx950 opt=O3
	.text
	.amdgcn_target "amdgcn-amd-amdhsa--gfx950"
	.amdhsa_code_object_version 6
	.protected	bluestein_single_fwd_len595_dim1_sp_op_CI_CI ; -- Begin function bluestein_single_fwd_len595_dim1_sp_op_CI_CI
	.globl	bluestein_single_fwd_len595_dim1_sp_op_CI_CI
	.p2align	8
	.type	bluestein_single_fwd_len595_dim1_sp_op_CI_CI,@function
bluestein_single_fwd_len595_dim1_sp_op_CI_CI: ; @bluestein_single_fwd_len595_dim1_sp_op_CI_CI
; %bb.0:
	s_load_dwordx4 s[16:19], s[0:1], 0x28
	v_mul_u32_u24_e32 v1, 0xf10, v0
	v_lshrrev_b32_e32 v2, 16, v1
	v_mad_u64_u32 v[14:15], s[2:3], s2, 3, v[2:3]
	v_mov_b32_e32 v89, 0
	v_mov_b32_e32 v15, v89
	s_waitcnt lgkmcnt(0)
	v_cmp_gt_u64_e32 vcc, s[16:17], v[14:15]
	s_and_saveexec_b64 s[2:3], vcc
	s_cbranch_execz .LBB0_10
; %bb.1:
	s_load_dwordx4 s[4:7], s[0:1], 0x18
	s_load_dwordx4 s[8:11], s[0:1], 0x0
	v_mul_lo_u16_e32 v1, 17, v2
	v_sub_u16_e32 v88, v0, v1
	v_mov_b32_e32 v4, s18
	s_waitcnt lgkmcnt(0)
	s_load_dwordx4 s[12:15], s[4:5], 0x0
	v_mov_b32_e32 v5, s19
	v_mov_b32_e32 v12, 0x2a8
	v_accvgpr_write_b32 a34, v14
	v_mov_b32_e32 v13, 0xfffff098
	s_waitcnt lgkmcnt(0)
	v_mad_u64_u32 v[0:1], s[2:3], s14, v14, 0
	v_mov_b32_e32 v2, v1
	v_mad_u64_u32 v[2:3], s[2:3], s15, v14, v[2:3]
	v_mov_b32_e32 v1, v2
	;; [unrolled: 2-line block ×4, first 2 shown]
	v_lshl_add_u64 v[0:1], v[0:1], 3, v[4:5]
	v_lshl_add_u64 v[6:7], v[2:3], 3, v[0:1]
	v_lshlrev_b32_e32 v2, 3, v88
	v_mad_u64_u32 v[10:11], s[2:3], s12, v12, v[6:7]
	global_load_dwordx2 v[4:5], v[6:7], off
	global_load_dwordx2 v[34:35], v2, s[8:9]
	s_mul_i32 s2, s13, 0x2a8
	v_add_u32_e32 v11, s2, v11
	global_load_dwordx2 v[32:33], v2, s[8:9] offset:680
	global_load_dwordx2 v[6:7], v[10:11], off
	s_mov_b32 s3, 0xaaaaaaab
	v_mul_hi_u32 v8, v14, s3
	v_lshrrev_b32_e32 v8, 1, v8
	v_lshl_add_u32 v8, v8, 1, v8
	v_sub_u32_e32 v8, v14, v8
	v_mad_u64_u32 v[14:15], s[14:15], s12, v12, v[10:11]
	v_add_u32_e32 v15, s2, v15
	s_load_dwordx4 s[4:7], s[6:7], 0x0
	global_load_dwordx2 v[60:61], v2, s[8:9] offset:2040
	global_load_dwordx2 v[62:63], v2, s[8:9] offset:3400
	;; [unrolled: 1-line block ×7, first 2 shown]
	global_load_dwordx2 v[10:11], v[14:15], off
	global_load_dwordx2 v[64:65], v2, s[8:9] offset:136
	global_load_dwordx2 v[44:45], v2, s[8:9] offset:272
	;; [unrolled: 1-line block ×4, first 2 shown]
	v_mad_u64_u32 v[14:15], s[14:15], s12, v12, v[14:15]
	v_mul_u32_u24_e32 v16, 0x253, v8
	v_add_u32_e32 v15, s2, v15
	v_lshlrev_b32_e32 v96, 3, v16
	global_load_dwordx2 v[16:17], v[14:15], off
	v_mad_u64_u32 v[14:15], s[14:15], s12, v12, v[14:15]
	v_add_u32_e32 v15, s2, v15
	global_load_dwordx2 v[18:19], v[14:15], off
	global_load_dwordx2 v[66:67], v2, s[8:9] offset:2720
	v_mad_u64_u32 v[14:15], s[14:15], s12, v12, v[14:15]
	v_add_u32_e32 v15, s2, v15
	global_load_dwordx2 v[20:21], v[14:15], off
	v_mad_u64_u32 v[14:15], s[14:15], s12, v12, v[14:15]
	s_mul_i32 s3, s13, 0xfffff098
	v_add_u32_e32 v15, s2, v15
	s_sub_i32 s3, s3, s12
	global_load_dwordx2 v[22:23], v[14:15], off
	v_mad_u64_u32 v[14:15], s[14:15], s12, v13, v[14:15]
	v_add_u32_e32 v15, s3, v15
	global_load_dwordx2 v[24:25], v[14:15], off
	v_mad_u64_u32 v[14:15], s[14:15], s12, v12, v[14:15]
	v_add_u32_e32 v15, s2, v15
	global_load_dwordx2 v[26:27], v[14:15], off
	v_mad_u64_u32 v[14:15], s[14:15], s12, v12, v[14:15]
	v_mov_b32_e32 v3, v89
	v_add_u32_e32 v15, s2, v15
	v_lshl_add_u64 v[8:9], s[8:9], 0, v[2:3]
	global_load_dwordx2 v[28:29], v[14:15], off
	v_mad_u64_u32 v[14:15], s[14:15], s12, v12, v[14:15]
	v_add_u32_e32 v15, s2, v15
	v_add_u32_e32 v86, v2, v96
	s_mov_b32 s18, 0x3eae86e6
	s_mov_b32 s19, 0xbf08b237
	s_mov_b32 s20, s19
	s_mov_b32 s21, s18
	s_mov_b32 s16, 0x3f955555
	s_mov_b32 s24, 0x3f3bfb3b
	s_mov_b32 s22, 0x3f5ff5aa
	v_accvgpr_write_b32 a181, v86
                                        ; implicit-def: $vgpr166
                                        ; implicit-def: $vgpr176
                                        ; implicit-def: $vgpr174
                                        ; implicit-def: $vgpr172
                                        ; implicit-def: $vgpr170
                                        ; implicit-def: $vgpr168
                                        ; implicit-def: $vgpr162
                                        ; implicit-def: $vgpr164
                                        ; implicit-def: $vgpr178
                                        ; implicit-def: $vgpr180
	s_waitcnt vmcnt(22)
	v_mul_f32_e32 v30, v5, v35
	v_mul_f32_e32 v3, v4, v35
	v_fmac_f32_e32 v30, v4, v34
	v_fma_f32 v31, v5, v34, -v3
	s_waitcnt vmcnt(20)
	v_mul_f32_e32 v4, v7, v33
	v_mul_f32_e32 v3, v6, v33
	scratch_store_dwordx2 off, v[32:33], off offset:236 ; 8-byte Folded Spill
	v_fmac_f32_e32 v4, v6, v32
	v_fma_f32 v5, v7, v32, -v3
	global_load_dwordx2 v[6:7], v[14:15], off
	global_load_dwordx2 v[94:95], v2, s[8:9] offset:2176
	v_mad_u64_u32 v[14:15], s[14:15], s12, v12, v[14:15]
	v_add_u32_e32 v15, s2, v15
	global_load_dwordx2 v[32:33], v[14:15], off
	global_load_dwordx2 v[92:93], v2, s[8:9] offset:2856
	v_mad_u64_u32 v[14:15], s[14:15], s12, v12, v[14:15]
	v_accvgpr_write_b32 a45, v35
	v_add_u32_e32 v15, s2, v15
	v_accvgpr_write_b32 a44, v34
	global_load_dwordx2 v[34:35], v[14:15], off
	global_load_dwordx2 v[76:77], v2, s[8:9] offset:3536
	v_mad_u64_u32 v[14:15], s[14:15], s12, v12, v[14:15]
	v_add_u32_e32 v15, s2, v15
	s_movk_i32 s14, 0x1000
	global_load_dwordx2 v[36:37], v[14:15], off
	v_add_co_u32_e32 v8, vcc, s14, v8
	v_mad_u64_u32 v[14:15], s[14:15], s12, v13, v[14:15]
	v_add_u32_e32 v15, s3, v15
	global_load_dwordx2 v[38:39], v[14:15], off
	v_mad_u64_u32 v[14:15], s[14:15], s12, v12, v[14:15]
	v_add_u32_e32 v15, s2, v15
	global_load_dwordx2 v[40:41], v[14:15], off
	v_addc_co_u32_e32 v9, vcc, 0, v9, vcc
	global_load_dwordx2 v[90:91], v[8:9], off offset:120
	ds_write_b64 v86, v[4:5] offset:680
	s_waitcnt vmcnt(23)
	v_mul_f32_e32 v4, v11, v59
	v_mul_f32_e32 v3, v10, v59
	v_fmac_f32_e32 v4, v10, v58
	v_fma_f32 v5, v11, v58, -v3
	global_load_dwordx2 v[70:71], v2, s[8:9] offset:1088
	global_load_dwordx2 v[56:57], v2, s[8:9] offset:1224
	ds_write_b64 v86, v[4:5] offset:1360
	s_waitcnt vmcnt(20)
	v_mul_f32_e32 v4, v17, v61
	v_mul_f32_e32 v3, v16, v61
	v_accvgpr_write_b32 a38, v58
	v_fmac_f32_e32 v4, v16, v60
	v_fma_f32 v5, v17, v60, -v3
	v_accvgpr_write_b32 a39, v59
	global_load_dwordx2 v[84:85], v2, s[8:9] offset:1632
	global_load_dwordx2 v[74:75], v2, s[8:9] offset:1768
	;; [unrolled: 1-line block ×3, first 2 shown]
	ds_write_b64 v86, v[4:5] offset:2040
	s_waitcnt vmcnt(21)
	v_mul_f32_e32 v4, v19, v67
	v_mul_f32_e32 v3, v18, v67
	scratch_store_dwordx2 off, v[60:61], off offset:260 ; 8-byte Folded Spill
	v_fmac_f32_e32 v4, v18, v66
	v_fma_f32 v5, v19, v66, -v3
	global_load_dwordx2 v[82:83], v2, s[8:9] offset:2992
	global_load_dwordx2 v[68:69], v2, s[8:9] offset:3128
	ds_write_b64 v86, v[4:5] offset:2720
	s_waitcnt vmcnt(23)
	v_mul_f32_e32 v4, v21, v63
	v_mul_f32_e32 v3, v20, v63
	scratch_store_dwordx2 off, v[66:67], off offset:228 ; 8-byte Folded Spill
	v_fmac_f32_e32 v4, v20, v62
	v_fma_f32 v5, v21, v62, -v3
	global_load_dwordx2 v[80:81], v2, s[8:9] offset:3672
	global_load_dwordx2 v[60:61], v2, s[8:9] offset:3264
	ds_write_b64 v86, v[4:5] offset:3400
	v_mad_u64_u32 v[4:5], s[14:15], s12, v12, v[14:15]
	scratch_store_dwordx2 off, v[62:63], off offset:244 ; 8-byte Folded Spill
	v_add_u32_e32 v5, s2, v5
	global_load_dwordx2 v[10:11], v[4:5], off
	global_load_dwordx2 v[72:73], v2, s[8:9] offset:3808
	global_load_dwordx2 v[62:63], v2, s[8:9] offset:3944
	s_waitcnt vmcnt(29)
	v_mul_f32_e32 v14, v23, v51
	v_mul_f32_e32 v3, v22, v51
	v_fmac_f32_e32 v14, v22, v50
	v_fma_f32 v15, v23, v50, -v3
	ds_write_b64 v86, v[14:15] offset:4080
	s_waitcnt vmcnt(28)
	v_mul_f32_e32 v14, v25, v65
	v_mul_f32_e32 v3, v24, v65
	v_fmac_f32_e32 v14, v24, v64
	v_fma_f32 v15, v25, v64, -v3
	ds_write2_b64 v86, v[30:31], v[14:15] offset1:17
	s_waitcnt vmcnt(27)
	v_mul_f32_e32 v14, v27, v49
	v_mul_f32_e32 v3, v26, v49
	v_or_b32_e32 v30, 0x220, v88
	scratch_store_dwordx2 off, v[50:51], off offset:252 ; 8-byte Folded Spill
	scratch_store_dwordx2 off, v[64:65], off offset:220 ; 8-byte Folded Spill
	v_fmac_f32_e32 v14, v26, v48
	scratch_store_dwordx2 off, v[48:49], off offset:212 ; 8-byte Folded Spill
	v_fma_f32 v15, v27, v48, -v3
	s_waitcnt vmcnt(29)
	v_mul_f32_e32 v16, v29, v47
	scratch_store_dwordx2 off, v[46:47], off offset:204 ; 8-byte Folded Spill
	v_mad_u64_u32 v[4:5], s[14:15], s12, v12, v[4:5]
	v_mad_u64_u32 v[26:27], s[14:15], s12, v30, 0
	v_fmac_f32_e32 v16, v28, v46
	v_mul_f32_e32 v3, v28, v47
	global_load_dwordx2 v[50:51], v2, s[8:9] offset:2312
	global_load_dwordx2 v[78:79], v2, s[8:9] offset:2448
	;; [unrolled: 1-line block ×3, first 2 shown]
	s_waitcnt vmcnt(26)
	v_mul_f32_e32 v18, v35, v77
	scratch_store_dwordx2 off, v[94:95], off offset:196 ; 8-byte Folded Spill
	scratch_store_dwordx2 off, v[92:93], off offset:188 ; 8-byte Folded Spill
	v_mul_f32_e32 v19, v34, v77
	scratch_store_dwordx2 off, v[76:77], off offset:172 ; 8-byte Folded Spill
	v_add_u32_e32 v5, s2, v5
	v_mov_b32_e32 v28, v27
	v_fma_f32 v17, v29, v46, -v3
	v_fmac_f32_e32 v18, v34, v76
	v_fma_f32 v19, v35, v76, -v19
	global_load_dwordx2 v[76:77], v[8:9], off offset:392
	global_load_dwordx2 v[64:65], v[8:9], off offset:528
	global_load_dwordx2 v[24:25], v[4:5], off
	v_mad_u64_u32 v[4:5], s[14:15], s12, v12, v[4:5]
	v_mad_u64_u32 v[28:29], s[14:15], s13, v30, v[28:29]
	s_waitcnt vmcnt(29)
	v_mul_f32_e32 v22, v41, v43
	v_mul_f32_e32 v23, v40, v43
	v_fmac_f32_e32 v22, v40, v42
	v_fma_f32 v23, v41, v42, -v23
	v_add_u32_e32 v5, s2, v5
	v_mov_b32_e32 v27, v28
	s_waitcnt vmcnt(28)
	v_mul_f32_e32 v8, v37, v91
	v_mul_f32_e32 v9, v36, v91
	ds_write2_b64 v86, v[14:15], v[22:23] offset0:102 offset1:119
	global_load_dwordx2 v[14:15], v[4:5], off
	v_mad_u64_u32 v[4:5], s[14:15], s12, v12, v[4:5]
	v_lshl_add_u64 v[0:1], v[26:27], 3, v[0:1]
	v_lshlrev_b32_e32 v26, 3, v30
	v_fmac_f32_e32 v8, v36, v90
	scratch_store_dwordx2 off, v[90:91], off offset:180 ; 8-byte Folded Spill
	v_fma_f32 v9, v37, v90, -v9
	v_add_u32_e32 v5, s2, v5
	v_accvgpr_write_b32 a209, v26
	global_load_dwordx2 v[90:91], v26, s[8:9]
	v_mov_b32_e32 v26, 0xfffff340
	s_mulk_i32 s13, 0xf340
	global_load_dwordx2 v[22:23], v[4:5], off
	v_mad_u64_u32 v[4:5], s[14:15], s12, v26, v[4:5]
	s_sub_i32 s13, s13, s12
	v_add_u32_e32 v5, s13, v5
	global_load_dwordx2 v[26:27], v[4:5], off
	v_mad_u64_u32 v[4:5], s[14:15], s12, v12, v[4:5]
	v_add_u32_e32 v5, s2, v5
	v_mul_f32_e32 v2, v7, v95
	v_mul_f32_e32 v3, v6, v95
	v_accvgpr_write_b32 a1, v30
	global_load_dwordx2 v[30:31], v[4:5], off
	v_mad_u64_u32 v[4:5], s[14:15], s12, v12, v[4:5]
	v_fmac_f32_e32 v2, v6, v94
	v_fma_f32 v3, v7, v94, -v3
	v_mul_f32_e32 v6, v33, v93
	v_mul_f32_e32 v7, v32, v93
	v_add_u32_e32 v5, s2, v5
	v_fmac_f32_e32 v6, v32, v92
	v_fma_f32 v7, v33, v92, -v7
	global_load_dwordx2 v[32:33], v[4:5], off
	v_mad_u64_u32 v[4:5], s[14:15], s12, v12, v[4:5]
	v_add_u32_e32 v5, s2, v5
	global_load_dwordx2 v[34:35], v[4:5], off
	v_mad_u64_u32 v[4:5], s[14:15], s12, v12, v[4:5]
	v_add_u32_e32 v5, s2, v5
	global_load_dwordx2 v[36:37], v[4:5], off
	v_mad_u64_u32 v[4:5], s[14:15], s12, v12, v[4:5]
	v_mul_f32_e32 v20, v39, v45
	v_mul_f32_e32 v21, v38, v45
	v_add_u32_e32 v5, s2, v5
	v_fmac_f32_e32 v20, v38, v44
	v_fma_f32 v21, v39, v44, -v21
	global_load_dwordx2 v[38:39], v[4:5], off
	v_mad_u64_u32 v[4:5], s[14:15], s12, v12, v[4:5]
	v_add_u32_e32 v5, s2, v5
	global_load_dwordx2 v[0:1], v[0:1], off
	s_waitcnt vmcnt(26)
	v_mul_f32_e32 v28, v11, v85
	global_load_dwordx2 v[40:41], v[4:5], off
	v_mad_u64_u32 v[4:5], s[14:15], s12, v13, v[4:5]
	v_add_u32_e32 v5, s3, v5
	scratch_store_dwordx2 off, v[42:43], off offset:132 ; 8-byte Folded Spill
	global_load_dwordx2 v[42:43], v[4:5], off
	v_mad_u64_u32 v[4:5], s[14:15], s12, v12, v[4:5]
	v_add_u32_e32 v5, s2, v5
	scratch_store_dwordx2 off, v[44:45], off offset:148 ; 8-byte Folded Spill
	global_load_dwordx2 v[44:45], v[4:5], off
	v_mad_u64_u32 v[4:5], s[14:15], s12, v12, v[4:5]
	v_add_u32_e32 v5, s2, v5
	global_load_dwordx2 v[46:47], v[4:5], off
	v_mad_u64_u32 v[4:5], s[14:15], s12, v12, v[4:5]
	v_fmac_f32_e32 v28, v10, v84
	v_mul_f32_e32 v10, v10, v85
	v_add_u32_e32 v5, s2, v5
	v_fma_f32 v29, v11, v84, -v10
	global_load_dwordx2 v[10:11], v[4:5], off
	v_mad_u64_u32 v[4:5], s[14:15], s12, v12, v[4:5]
	v_add_u32_e32 v5, s2, v5
	ds_write2_b64 v86, v[16:17], v[28:29] offset0:187 offset1:204
	global_load_dwordx2 v[16:17], v[4:5], off
	v_mad_u64_u32 v[4:5], s[14:15], s12, v12, v[4:5]
	v_add_u32_e32 v5, s2, v5
	global_load_dwordx2 v[48:49], v[4:5], off
	v_mad_u64_u32 v[4:5], s[12:13], s12, v12, v[4:5]
	v_add_u32_e32 v5, s2, v5
	global_load_dwordx2 v[4:5], v[4:5], off
	s_waitcnt vmcnt(21)
	v_mul_f32_e32 v28, v25, v51
	v_mul_f32_e32 v12, v24, v51
	v_fmac_f32_e32 v28, v24, v50
	scratch_store_dwordx2 off, v[50:51], off offset:156 ; 8-byte Folded Spill
	v_fma_f32 v29, v25, v50, -v12
	v_add_u32_e32 v51, 0x800, v86
	ds_write2_b64 v51, v[2:3], v[28:29] offset0:16 offset1:33
	s_waitcnt vmcnt(21)
	v_mul_f32_e32 v2, v15, v83
	v_mul_f32_e32 v3, v14, v83
	v_fmac_f32_e32 v2, v14, v82
	v_fma_f32 v3, v15, v82, -v3
	ds_write2_b64 v51, v[6:7], v[2:3] offset0:101 offset1:118
	s_waitcnt vmcnt(18)
	v_mul_f32_e32 v2, v23, v81
	v_mul_f32_e32 v3, v22, v81
	v_fmac_f32_e32 v2, v22, v80
	v_fma_f32 v3, v23, v80, -v3
	ds_write2_b64 v51, v[18:19], v[2:3] offset0:186 offset1:203
	v_add_u32_e32 v50, 0x1000, v86
	scratch_store_dwordx2 off, v[84:85], off offset:164 ; 8-byte Folded Spill
	scratch_store_dwordx2 off, v[82:83], off offset:140 ; 8-byte Folded Spill
	;; [unrolled: 1-line block ×9, first 2 shown]
	s_waitcnt vmcnt(23)
	v_mul_f32_e32 v6, v35, v79
	v_mul_f32_e32 v7, v34, v79
	v_fmac_f32_e32 v6, v34, v78
	v_fma_f32 v7, v35, v78, -v7
	scratch_store_dwordx2 off, v[72:73], off offset:68 ; 8-byte Folded Spill
	scratch_store_dwordx2 off, v[76:77], off offset:60 ; 8-byte Folded Spill
	;; [unrolled: 1-line block ×8, first 2 shown]
	s_waitcnt vmcnt(29)
	v_mul_f32_e32 v12, v39, v73
	v_mul_f32_e32 v13, v38, v73
	v_fmac_f32_e32 v12, v38, v72
	v_fma_f32 v13, v39, v72, -v13
	s_waitcnt vmcnt(28)
	v_mul_f32_e32 v2, v1, v91
	v_fmac_f32_e32 v2, v0, v90
	v_mul_f32_e32 v0, v0, v91
	v_fma_f32 v3, v1, v90, -v0
	v_mul_f32_e32 v0, v27, v55
	v_mul_f32_e32 v1, v26, v55
	v_fmac_f32_e32 v0, v26, v54
	s_waitcnt vmcnt(25)
	v_mul_f32_e32 v18, v43, v53
	v_mul_f32_e32 v19, v42, v53
	v_fma_f32 v1, v27, v54, -v1
	v_fmac_f32_e32 v18, v42, v52
	v_fma_f32 v19, v43, v52, -v19
	ds_write2_b64 v86, v[20:21], v[0:1] offset0:34 offset1:51
	v_mul_f32_e32 v0, v31, v71
	v_mul_f32_e32 v1, v30, v71
	ds_write_b64 v86, v[18:19] offset:544
	s_waitcnt vmcnt(23)
	v_mul_f32_e32 v18, v45, v57
	v_mul_f32_e32 v19, v44, v57
	v_fmac_f32_e32 v0, v30, v70
	v_fma_f32 v1, v31, v70, -v1
	v_fmac_f32_e32 v18, v44, v56
	v_fma_f32 v19, v45, v56, -v19
	ds_write2_b64 v50, v[8:9], v[2:3] offset0:15 offset1:32
	v_mul_f32_e32 v2, v33, v75
	v_mul_f32_e32 v3, v32, v75
	ds_write2_b64 v86, v[0:1], v[18:19] offset0:136 offset1:153
	s_waitcnt vmcnt(22)
	v_mul_f32_e32 v0, v47, v59
	v_mul_f32_e32 v1, v46, v59
	v_fmac_f32_e32 v2, v32, v74
	v_fma_f32 v3, v33, v74, -v3
	v_fmac_f32_e32 v0, v46, v58
	v_fma_f32 v1, v47, v58, -v1
	ds_write2_b64 v86, v[2:3], v[0:1] offset0:221 offset1:238
	s_waitcnt vmcnt(21)
	v_mul_f32_e32 v0, v11, v67
	v_mul_f32_e32 v1, v10, v67
	v_fmac_f32_e32 v0, v10, v66
	v_fma_f32 v1, v11, v66, -v1
	v_mul_f32_e32 v8, v37, v69
	v_mul_f32_e32 v9, v36, v69
	ds_write2_b64 v51, v[6:7], v[0:1] offset0:50 offset1:67
	s_waitcnt vmcnt(20)
	v_mul_f32_e32 v0, v17, v61
	v_mul_f32_e32 v1, v16, v61
	v_fmac_f32_e32 v8, v36, v68
	v_fma_f32 v9, v37, v68, -v9
	v_fmac_f32_e32 v0, v16, v60
	v_fma_f32 v1, v17, v60, -v1
	ds_write2_b64 v51, v[8:9], v[0:1] offset0:135 offset1:152
	s_waitcnt vmcnt(19)
	v_mul_f32_e32 v0, v49, v63
	v_mul_f32_e32 v1, v48, v63
	v_fmac_f32_e32 v0, v48, v62
	v_fma_f32 v1, v49, v62, -v1
	v_mul_f32_e32 v14, v41, v77
	v_mul_f32_e32 v15, v40, v77
	ds_write2_b64 v51, v[12:13], v[0:1] offset0:220 offset1:237
	s_waitcnt vmcnt(18)
	v_mul_f32_e32 v0, v5, v65
	v_mul_f32_e32 v1, v4, v65
	v_fmac_f32_e32 v14, v40, v76
	v_fma_f32 v15, v41, v76, -v15
	v_fmac_f32_e32 v0, v4, v64
	v_fma_f32 v1, v5, v64, -v1
	ds_write2_b64 v50, v[14:15], v[0:1] offset0:49 offset1:66
	v_mul_lo_u16_e32 v0, 7, v88
	v_add_u32_e32 v12, 0xc00, v86
	scratch_store_dwordx2 off, v[64:65], off offset:4 ; 8-byte Folded Spill
	s_waitcnt lgkmcnt(0)
	; wave barrier
	s_waitcnt lgkmcnt(0)
	v_lshl_add_u32 v87, v0, 3, v96
	ds_read2_b64 v[16:19], v86 offset1:17
	ds_read2_b64 v[4:7], v86 offset0:102 offset1:119
	ds_read2_b64 v[20:23], v86 offset0:170 offset1:187
	;; [unrolled: 1-line block ×12, first 2 shown]
	s_mov_b32 s14, 0x3d64c772
	s_waitcnt lgkmcnt(3)
	v_pk_add_f32 v[66:67], v[20:21], v[30:31]
	s_waitcnt lgkmcnt(2)
	v_pk_add_f32 v[44:45], v[34:35], v[24:25]
	v_pk_add_f32 v[64:65], v[42:43], v[36:37]
	v_pk_add_f32 v[70:71], v[42:43], v[36:37] neg_lo:[0,1] neg_hi:[0,1]
	v_pk_add_f32 v[46:47], v[66:67], v[64:65]
	v_pk_add_f32 v[30:31], v[20:21], v[30:31] neg_lo:[0,1] neg_hi:[0,1]
	v_pk_add_f32 v[46:47], v[44:45], v[46:47]
	v_mov_b32_e32 v20, v44
	v_pk_add_f32 v[68:69], v[16:17], v[46:47]
	v_pk_add_f32 v[16:17], v[24:25], v[34:35] neg_lo:[0,1] neg_hi:[0,1]
	v_mov_b32_e32 v21, v65
	v_mov_b32_e32 v24, v66
	;; [unrolled: 1-line block ×3, first 2 shown]
	v_pk_add_f32 v[20:21], v[20:21], v[24:25] neg_lo:[0,1] neg_hi:[0,1]
	v_mov_b32_e32 v24, v64
	v_mov_b32_e32 v45, v67
	;; [unrolled: 1-line block ×6, first 2 shown]
	s_mov_b32 s15, 0x3f4a47b2
	v_pk_add_f32 v[72:73], v[24:25], v[44:45] neg_lo:[0,1] neg_hi:[0,1]
	v_pk_add_f32 v[24:25], v[16:17], v[30:31]
	v_pk_add_f32 v[34:35], v[34:35], v[36:37] neg_lo:[0,1] neg_hi:[0,1]
	v_mov_b32_e32 v36, v71
	v_mov_b32_e32 v16, v17
	;; [unrolled: 1-line block ×3, first 2 shown]
	s_mov_b32 s2, s15
	s_mov_b32 s3, s14
	s_mov_b32 s12, 0x3ee1c552
	v_pk_add_f32 v[74:75], v[36:37], v[16:17] neg_lo:[0,1] neg_hi:[0,1]
	v_pk_add_f32 v[76:77], v[24:25], v[70:71]
	v_pk_mul_f32 v[78:79], v[20:21], s[14:15]
	v_pk_mul_f32 v[80:81], v[34:35], s[20:21]
	v_pk_mul_f32 v[16:17], v[76:77], s[12:13] op_sel_hi:[1,0]
	v_pk_fma_f32 v[82:83], v[46:47], s[16:17], v[68:69] op_sel_hi:[1,0,1] neg_lo:[1,0,0] neg_hi:[1,0,0]
	v_pk_fma_f32 v[20:21], v[72:73], s[2:3], v[78:79]
	v_pk_fma_f32 v[24:25], v[74:75], s[18:19], v[80:81]
	v_pk_add_f32 v[20:21], v[20:21], v[82:83]
	v_pk_add_f32 v[16:17], v[16:17], v[24:25] op_sel:[1,0] op_sel_hi:[0,1]
	v_pk_add_f32 v[24:25], v[20:21], v[16:17]
	v_pk_add_f32 v[20:21], v[20:21], v[16:17] neg_lo:[0,1] neg_hi:[0,1]
	v_mov_b32_e32 v84, v24
	v_mov_b32_e32 v85, v21
	ds_read2_b64 v[60:63], v50 offset0:32 offset1:49
	ds_read_b64 v[16:17], v86 offset:4624
	ds_read2_b64 v[42:45], v86 offset0:136 offset1:153
	ds_read2_b64 v[34:37], v51 offset0:50 offset1:67
	;; [unrolled: 1-line block ×3, first 2 shown]
	s_waitcnt lgkmcnt(0)
	; wave barrier
	s_waitcnt lgkmcnt(0)
	ds_write2_b64 v87, v[68:69], v[84:85] offset1:1
	v_pk_add_f32 v[64:65], v[66:67], v[64:65] neg_lo:[0,1] neg_hi:[0,1]
	v_pk_mul_f32 v[66:67], v[72:73], s[2:3]
	v_pk_mul_f32 v[68:69], v[74:75], s[18:19]
	v_pk_add_f32 v[30:31], v[30:31], v[70:71] neg_lo:[0,1] neg_hi:[0,1]
	v_mov_b32_e32 v70, v66
	v_mov_b32_e32 v71, v79
	;; [unrolled: 1-line block ×7, first 2 shown]
	v_pk_fma_f32 v[70:71], v[64:65], s[24:25], v[70:71] op_sel_hi:[1,0,1] neg_lo:[1,0,1] neg_hi:[1,0,1]
	v_pk_fma_f32 v[72:73], v[30:31], s[22:23], v[72:73] op_sel_hi:[1,0,1] neg_lo:[1,0,1] neg_hi:[1,0,1]
	;; [unrolled: 1-line block ×4, first 2 shown]
	v_pk_add_f32 v[70:71], v[70:71], v[82:83]
	v_pk_fma_f32 v[72:73], v[76:77], s[12:13], v[72:73] op_sel_hi:[1,0,1]
	v_pk_add_f32 v[64:65], v[64:65], v[82:83]
	v_pk_fma_f32 v[30:31], v[76:77], s[12:13], v[30:31] op_sel_hi:[1,0,1]
	v_pk_add_f32 v[74:75], v[70:71], v[72:73] op_sel:[0,1] op_sel_hi:[1,0]
	v_pk_add_f32 v[70:71], v[70:71], v[72:73] op_sel:[0,1] op_sel_hi:[1,0] neg_lo:[0,1] neg_hi:[0,1]
	v_pk_add_f32 v[66:67], v[64:65], v[30:31] op_sel:[0,1] op_sel_hi:[1,0] neg_lo:[0,1] neg_hi:[0,1]
	v_pk_add_f32 v[30:31], v[64:65], v[30:31] op_sel:[0,1] op_sel_hi:[1,0]
	v_mov_b32_e32 v64, v74
	v_mov_b32_e32 v65, v71
	;; [unrolled: 1-line block ×4, first 2 shown]
	ds_write2_b64 v87, v[64:65], v[68:69] offset0:2 offset1:3
	v_pk_add_f32 v[64:65], v[4:5], v[38:39]
	v_pk_add_f32 v[68:69], v[22:23], v[8:9]
	;; [unrolled: 1-line block ×4, first 2 shown]
	v_pk_add_f32 v[8:9], v[22:23], v[8:9] neg_lo:[0,1] neg_hi:[0,1]
	v_pk_add_f32 v[0:1], v[26:27], v[0:1] neg_lo:[0,1] neg_hi:[0,1]
	v_mov_b32_e32 v22, v72
	v_mov_b32_e32 v23, v65
	v_mov_b32_e32 v26, v68
	v_mov_b32_e32 v27, v73
	v_pk_add_f32 v[76:77], v[72:73], v[76:77]
	v_pk_add_f32 v[4:5], v[4:5], v[38:39] neg_lo:[0,1] neg_hi:[0,1]
	v_pk_add_f32 v[22:23], v[22:23], v[26:27] neg_lo:[0,1] neg_hi:[0,1]
	v_mov_b32_e32 v26, v64
	v_mov_b32_e32 v73, v69
	v_pk_add_f32 v[26:27], v[26:27], v[72:73] neg_lo:[0,1] neg_hi:[0,1]
	v_mov_b32_e32 v38, v1
	v_mov_b32_e32 v39, v4
	;; [unrolled: 1-line block ×4, first 2 shown]
	v_pk_add_f32 v[38:39], v[38:39], v[72:73] neg_lo:[0,1] neg_hi:[0,1]
	v_mov_b32_e32 v72, v5
	v_mov_b32_e32 v78, v1
	v_mov_b32_e32 v79, v8
	v_pk_add_f32 v[0:1], v[0:1], v[8:9]
	v_pk_add_f32 v[72:73], v[72:73], v[78:79] neg_lo:[0,1] neg_hi:[0,1]
	v_pk_add_f32 v[0:1], v[0:1], v[4:5]
	v_pk_mul_f32 v[38:39], v[38:39], s[20:21]
	v_pk_mul_f32 v[78:79], v[0:1], s[12:13] op_sel_hi:[1,0]
	v_pk_fma_f32 v[80:81], v[72:73], s[18:19], v[38:39]
	v_pk_mul_f32 v[22:23], v[22:23], s[14:15]
	v_pk_add_f32 v[4:5], v[8:9], v[4:5] neg_lo:[0,1] neg_hi:[0,1]
	v_pk_mul_f32 v[8:9], v[26:27], s[2:3]
	v_pk_add_f32 v[78:79], v[78:79], v[80:81] op_sel:[1,0] op_sel_hi:[0,1]
	v_pk_fma_f32 v[80:81], v[26:27], s[2:3], v[22:23]
	v_pk_add_f32 v[64:65], v[68:69], v[64:65] neg_lo:[0,1] neg_hi:[0,1]
	v_pk_mul_f32 v[26:27], v[72:73], s[18:19]
	v_mov_b32_e32 v69, v23
	v_mov_b32_e32 v23, v9
	v_pk_add_f32 v[18:19], v[18:19], v[76:77]
	v_mov_b32_e32 v68, v8
	v_mov_b32_e32 v72, v39
	;; [unrolled: 1-line block ×3, first 2 shown]
	v_pk_fma_f32 v[8:9], v[64:65], s[24:25], v[22:23] op_sel_hi:[1,0,1] neg_lo:[0,0,1] neg_hi:[0,0,1]
	v_mov_b32_e32 v22, v27
	v_mov_b32_e32 v23, v38
	v_pk_fma_f32 v[76:77], v[76:77], s[16:17], v[18:19] op_sel_hi:[1,0,1] neg_lo:[1,0,0] neg_hi:[1,0,0]
	v_pk_fma_f32 v[72:73], v[4:5], s[22:23], v[72:73] op_sel_hi:[1,0,1] neg_lo:[1,0,1] neg_hi:[1,0,1]
	;; [unrolled: 1-line block ×3, first 2 shown]
	v_pk_fma_f32 v[72:73], v[0:1], s[12:13], v[72:73] op_sel_hi:[1,0,1]
	v_pk_add_f32 v[8:9], v[8:9], v[76:77]
	v_pk_fma_f32 v[0:1], v[0:1], s[12:13], v[4:5] op_sel_hi:[1,0,1]
	v_pk_add_f32 v[22:23], v[52:53], v[10:11]
	v_pk_add_f32 v[4:5], v[8:9], v[0:1] op_sel:[0,1] op_sel_hi:[1,0] neg_lo:[0,1] neg_hi:[0,1]
	v_pk_add_f32 v[0:1], v[8:9], v[0:1] op_sel:[0,1] op_sel_hi:[1,0]
	v_pk_add_f32 v[8:9], v[6:7], v[60:61]
	v_pk_add_f32 v[26:27], v[2:3], v[56:57]
	v_pk_add_f32 v[10:11], v[52:53], v[10:11] neg_lo:[0,1] neg_hi:[0,1]
	v_mov_b32_e32 v38, v26
	v_mov_b32_e32 v39, v9
	;; [unrolled: 1-line block ×4, first 2 shown]
	v_pk_add_f32 v[38:39], v[38:39], v[52:53] neg_lo:[0,1] neg_hi:[0,1]
	v_pk_add_f32 v[52:53], v[22:23], v[8:9]
	v_pk_add_f32 v[6:7], v[6:7], v[60:61] neg_lo:[0,1] neg_hi:[0,1]
	v_pk_add_f32 v[2:3], v[56:57], v[2:3] neg_lo:[0,1] neg_hi:[0,1]
	v_pk_add_f32 v[52:53], v[26:27], v[52:53]
	v_mov_b32_e32 v56, v8
	v_mov_b32_e32 v57, v27
	;; [unrolled: 1-line block ×3, first 2 shown]
	v_pk_add_f32 v[26:27], v[56:57], v[26:27] neg_lo:[0,1] neg_hi:[0,1]
	v_mov_b32_e32 v56, v3
	v_mov_b32_e32 v57, v6
	;; [unrolled: 1-line block ×4, first 2 shown]
	v_pk_fma_f32 v[68:69], v[64:65], s[24:25], v[68:69] op_sel_hi:[1,0,1] neg_lo:[1,0,1] neg_hi:[1,0,1]
	v_pk_add_f32 v[56:57], v[56:57], v[60:61] neg_lo:[0,1] neg_hi:[0,1]
	v_mov_b32_e32 v60, v7
	v_mov_b32_e32 v64, v3
	;; [unrolled: 1-line block ×3, first 2 shown]
	v_pk_add_f32 v[2:3], v[2:3], v[10:11]
	v_pk_add_f32 v[80:81], v[80:81], v[76:77]
	;; [unrolled: 1-line block ×3, first 2 shown]
	v_pk_add_f32 v[60:61], v[60:61], v[64:65] neg_lo:[0,1] neg_hi:[0,1]
	v_pk_add_f32 v[2:3], v[2:3], v[6:7]
	v_pk_mul_f32 v[56:57], v[56:57], s[20:21]
	v_pk_add_f32 v[82:83], v[80:81], v[78:79]
	v_pk_add_f32 v[78:79], v[80:81], v[78:79] neg_lo:[0,1] neg_hi:[0,1]
	v_pk_add_f32 v[80:81], v[68:69], v[72:73] op_sel:[0,1] op_sel_hi:[1,0]
	v_pk_add_f32 v[68:69], v[68:69], v[72:73] op_sel:[0,1] op_sel_hi:[1,0] neg_lo:[0,1] neg_hi:[0,1]
	v_pk_mul_f32 v[64:65], v[2:3], s[12:13] op_sel_hi:[1,0]
	v_pk_fma_f32 v[72:73], v[60:61], s[18:19], v[56:57]
	v_pk_mul_f32 v[38:39], v[38:39], s[14:15]
	v_pk_add_f32 v[8:9], v[22:23], v[8:9] neg_lo:[0,1] neg_hi:[0,1]
	v_pk_add_f32 v[6:7], v[10:11], v[6:7] neg_lo:[0,1] neg_hi:[0,1]
	v_pk_mul_f32 v[10:11], v[26:27], s[2:3]
	v_pk_mul_f32 v[22:23], v[60:61], s[18:19]
	v_pk_add_f32 v[64:65], v[64:65], v[72:73] op_sel:[1,0] op_sel_hi:[0,1]
	v_pk_add_f32 v[12:13], v[12:13], v[52:53]
	v_pk_fma_f32 v[72:73], v[26:27], s[2:3], v[38:39]
	v_mov_b32_e32 v26, v10
	v_mov_b32_e32 v27, v39
	;; [unrolled: 1-line block ×7, first 2 shown]
	v_pk_fma_f32 v[52:53], v[52:53], s[16:17], v[12:13] op_sel_hi:[1,0,1] neg_lo:[1,0,0] neg_hi:[1,0,0]
	v_pk_fma_f32 v[26:27], v[8:9], s[24:25], v[26:27] op_sel_hi:[1,0,1] neg_lo:[1,0,1] neg_hi:[1,0,1]
	;; [unrolled: 1-line block ×5, first 2 shown]
	v_pk_fma_f32 v[60:61], v[2:3], s[12:13], v[60:61] op_sel_hi:[1,0,1]
	v_pk_add_f32 v[8:9], v[8:9], v[52:53]
	v_pk_fma_f32 v[2:3], v[2:3], s[12:13], v[6:7] op_sel_hi:[1,0,1]
	v_pk_add_f32 v[10:11], v[54:55], v[46:47]
	v_pk_add_f32 v[6:7], v[8:9], v[2:3] op_sel:[0,1] op_sel_hi:[1,0] neg_lo:[0,1] neg_hi:[0,1]
	v_pk_add_f32 v[2:3], v[8:9], v[2:3] op_sel:[0,1] op_sel_hi:[1,0]
	v_pk_add_f32 v[8:9], v[42:43], v[62:63]
	v_pk_add_f32 v[22:23], v[34:35], v[58:59]
	;; [unrolled: 1-line block ×5, first 2 shown]
	v_pk_add_f32 v[42:43], v[42:43], v[62:63] neg_lo:[0,1] neg_hi:[0,1]
	v_pk_add_f32 v[46:47], v[54:55], v[46:47] neg_lo:[0,1] neg_hi:[0,1]
	v_pk_add_f32 v[34:35], v[58:59], v[34:35] neg_lo:[0,1] neg_hi:[0,1]
	v_mov_b32_e32 v52, v22
	v_mov_b32_e32 v53, v9
	;; [unrolled: 1-line block ×6, first 2 shown]
	v_pk_add_f32 v[38:39], v[22:23], v[38:39]
	v_pk_add_f32 v[52:53], v[52:53], v[54:55] neg_lo:[0,1] neg_hi:[0,1]
	v_mov_b32_e32 v54, v8
	v_mov_b32_e32 v23, v11
	ds_write2_b64 v87, v[30:31], v[70:71] offset0:4 offset1:5
	v_mov_b32_e32 v30, v35
	v_mov_b32_e32 v31, v42
	;; [unrolled: 1-line block ×4, first 2 shown]
	v_pk_add_f32 v[22:23], v[54:55], v[22:23] neg_lo:[0,1] neg_hi:[0,1]
	v_pk_add_f32 v[54:55], v[34:35], v[46:47]
	v_pk_add_f32 v[30:31], v[30:31], v[56:57] neg_lo:[0,1] neg_hi:[0,1]
	v_mov_b32_e32 v56, v43
	v_mov_b32_e32 v34, v35
	v_mov_b32_e32 v35, v46
	v_pk_add_f32 v[34:35], v[56:57], v[34:35] neg_lo:[0,1] neg_hi:[0,1]
	v_pk_add_f32 v[54:55], v[54:55], v[42:43]
	v_pk_mul_f32 v[30:31], v[30:31], s[20:21]
	v_pk_mul_f32 v[56:57], v[54:55], s[12:13] op_sel_hi:[1,0]
	v_pk_fma_f32 v[58:59], v[34:35], s[18:19], v[30:31]
	v_pk_mul_f32 v[52:53], v[52:53], s[14:15]
	v_pk_add_f32 v[8:9], v[10:11], v[8:9] neg_lo:[0,1] neg_hi:[0,1]
	v_pk_mul_f32 v[10:11], v[22:23], s[2:3]
	v_pk_add_f32 v[14:15], v[14:15], v[38:39]
	v_pk_add_f32 v[56:57], v[56:57], v[58:59] op_sel:[1,0] op_sel_hi:[0,1]
	v_pk_fma_f32 v[58:59], v[22:23], s[2:3], v[52:53]
	v_pk_mul_f32 v[22:23], v[34:35], s[18:19]
	v_pk_add_f32 v[34:35], v[46:47], v[42:43] neg_lo:[0,1] neg_hi:[0,1]
	v_mov_b32_e32 v42, v10
	v_mov_b32_e32 v43, v53
	v_mov_b32_e32 v53, v11
	v_lshl_add_u64 v[84:85], v[88:89], 0, 17
	v_pk_fma_f32 v[38:39], v[38:39], s[16:17], v[14:15] op_sel_hi:[1,0,1] neg_lo:[1,0,0] neg_hi:[1,0,0]
	v_pk_fma_f32 v[42:43], v[8:9], s[24:25], v[42:43] op_sel_hi:[1,0,1] neg_lo:[1,0,1] neg_hi:[1,0,1]
	v_mov_b32_e32 v46, v31
	v_mov_b32_e32 v47, v22
	v_pk_fma_f32 v[8:9], v[8:9], s[24:25], v[52:53] op_sel_hi:[1,0,1] neg_lo:[0,0,1] neg_hi:[0,0,1]
	v_mul_u32_u24_e32 v21, 7, v84
	v_pk_add_f32 v[58:59], v[58:59], v[38:39]
	v_pk_fma_f32 v[46:47], v[34:35], s[22:23], v[46:47] op_sel_hi:[1,0,1] neg_lo:[1,0,1] neg_hi:[1,0,1]
	v_pk_add_f32 v[42:43], v[42:43], v[38:39]
	v_pk_add_f32 v[8:9], v[8:9], v[38:39]
	v_lshl_add_u32 v39, v21, 3, v96
	v_mov_b32_e32 v21, v25
	v_pk_fma_f32 v[46:47], v[54:55], s[12:13], v[46:47] op_sel_hi:[1,0,1]
	v_lshl_add_u64 v[52:53], v[88:89], 0, 34
	ds_write_b64 v87, v[20:21] offset:48
	v_mov_b32_e32 v20, v82
	v_mov_b32_e32 v21, v79
	v_pk_add_f32 v[76:77], v[72:73], v[64:65]
	v_pk_add_f32 v[64:65], v[72:73], v[64:65] neg_lo:[0,1] neg_hi:[0,1]
	v_pk_add_f32 v[72:73], v[26:27], v[60:61] op_sel:[0,1] op_sel_hi:[1,0]
	v_pk_add_f32 v[26:27], v[26:27], v[60:61] op_sel:[0,1] op_sel_hi:[1,0] neg_lo:[0,1] neg_hi:[0,1]
	v_pk_add_f32 v[60:61], v[58:59], v[56:57]
	v_pk_add_f32 v[56:57], v[58:59], v[56:57] neg_lo:[0,1] neg_hi:[0,1]
	v_pk_add_f32 v[58:59], v[42:43], v[46:47] op_sel:[0,1] op_sel_hi:[1,0]
	v_pk_add_f32 v[42:43], v[42:43], v[46:47] op_sel:[0,1] op_sel_hi:[1,0] neg_lo:[0,1] neg_hi:[0,1]
	s_load_dwordx2 s[2:3], s[0:1], 0x38
	v_mov_b32_e32 v10, v23
	v_mov_b32_e32 v11, v30
	v_lshl_add_u64 v[46:47], v[88:89], 0, 51
	s_mov_b64 s[0:1], 0x44
	ds_write2_b64 v39, v[18:19], v[20:21] offset1:1
	v_mov_b32_e32 v21, v1
	v_mul_u32_u24_e32 v1, 7, v52
	v_pk_fma_f32 v[10:11], v[34:35], s[22:23], v[10:11] op_sel_hi:[1,0,1] neg_lo:[0,0,1] neg_hi:[0,0,1]
	v_lshl_add_u64 v[34:35], v[88:89], 0, s[0:1]
	v_lshl_add_u32 v38, v1, 3, v96
	v_mul_u32_u24_e32 v1, 7, v46
	v_mov_b32_e32 v19, v69
	v_lshl_add_u32 v35, v1, 3, v96
	v_mov_b32_e32 v1, v5
	v_mov_b32_e32 v69, v81
	;; [unrolled: 1-line block ×4, first 2 shown]
	v_mul_u32_u24_e32 v4, 7, v34
	ds_write2_b64 v39, v[0:1], v[68:69] offset0:4 offset1:5
	v_mov_b32_e32 v79, v83
	v_mov_b32_e32 v0, v76
	;; [unrolled: 1-line block ×3, first 2 shown]
	v_pk_fma_f32 v[10:11], v[54:55], s[12:13], v[10:11] op_sel_hi:[1,0,1]
	ds_write2_b64 v39, v[18:19], v[20:21] offset0:2 offset1:3
	v_accvgpr_write_b32 a0, v34
	v_lshl_add_u32 v34, v4, 3, v96
	ds_write_b64 v39, v[78:79] offset:48
	ds_write2_b64 v38, v[12:13], v[0:1] offset1:1
	v_mov_b32_e32 v0, v72
	v_mov_b32_e32 v1, v27
	v_mov_b32_e32 v4, v6
	v_mov_b32_e32 v5, v3
	v_pk_add_f32 v[22:23], v[8:9], v[10:11] op_sel:[0,1] op_sel_hi:[1,0] neg_lo:[0,1] neg_hi:[0,1]
	v_pk_add_f32 v[8:9], v[8:9], v[10:11] op_sel:[0,1] op_sel_hi:[1,0]
	ds_write2_b64 v38, v[0:1], v[4:5] offset0:2 offset1:3
	v_mov_b32_e32 v3, v7
	v_mov_b32_e32 v27, v73
	;; [unrolled: 1-line block ×5, first 2 shown]
	v_pk_add_f32 v[10:11], v[44:45], v[16:17]
	v_pk_add_f32 v[24:25], v[32:33], v[48:49]
	ds_write2_b64 v38, v[2:3], v[26:27] offset0:4 offset1:5
	ds_write_b64 v38, v[64:65] offset:48
	ds_write2_b64 v35, v[14:15], v[0:1] offset1:1
	v_mov_b32_e32 v0, v58
	v_mov_b32_e32 v1, v43
	;; [unrolled: 1-line block ×4, first 2 shown]
	v_pk_add_f32 v[18:19], v[36:37], v[28:29]
	v_pk_add_f32 v[20:21], v[24:25], v[10:11]
	ds_write2_b64 v35, v[0:1], v[2:3] offset0:2 offset1:3
	v_mov_b32_e32 v9, v23
	v_mov_b32_e32 v43, v59
	v_pk_add_f32 v[0:1], v[44:45], v[16:17] neg_lo:[0,1] neg_hi:[0,1]
	v_pk_add_f32 v[2:3], v[32:33], v[48:49] neg_lo:[0,1] neg_hi:[0,1]
	;; [unrolled: 1-line block ×3, first 2 shown]
	v_pk_add_f32 v[20:21], v[18:19], v[20:21]
	ds_write2_b64 v35, v[8:9], v[42:43] offset0:4 offset1:5
	v_pk_add_f32 v[6:7], v[24:25], v[10:11] neg_lo:[0,1] neg_hi:[0,1]
	v_pk_add_f32 v[8:9], v[10:11], v[18:19] neg_lo:[0,1] neg_hi:[0,1]
	v_pk_add_f32 v[10:11], v[4:5], v[2:3]
	v_pk_add_f32 v[14:15], v[2:3], v[0:1] neg_lo:[0,1] neg_hi:[0,1]
	s_mov_b32 s0, s15
	v_pk_add_f32 v[30:31], v[40:41], v[20:21]
	v_pk_add_f32 v[12:13], v[0:1], v[4:5] neg_lo:[0,1] neg_hi:[0,1]
	v_pk_add_f32 v[0:1], v[10:11], v[0:1]
	v_pk_mul_f32 v[8:9], v[8:9], s[0:1] op_sel_hi:[1,0]
	v_pk_mul_f32 v[10:11], v[6:7], s[24:25] op_sel_hi:[1,0]
	;; [unrolled: 1-line block ×4, first 2 shown]
	v_pk_fma_f32 v[20:21], v[20:21], s[16:17], v[30:31] op_sel_hi:[1,0,1] neg_lo:[1,0,0] neg_hi:[1,0,0]
	v_pk_add_f32 v[10:11], v[8:9], v[10:11] op_sel:[1,1] op_sel_hi:[0,0] neg_lo:[1,1] neg_hi:[1,1]
	v_pk_fma_f32 v[12:13], v[12:13], s[18:19], v[22:23] op_sel_hi:[1,0,1] neg_lo:[1,0,1] neg_hi:[1,0,1]
	v_pk_add_f32 v[10:11], v[10:11], v[20:21] op_sel:[0,1] op_sel_hi:[1,0]
	v_pk_fma_f32 v[12:13], v[0:1], s[12:13], v[12:13] op_sel_hi:[1,0,1]
	v_pk_add_f32 v[2:3], v[4:5], v[2:3] neg_lo:[0,1] neg_hi:[0,1]
	v_pk_add_f32 v[22:23], v[10:11], v[12:13]
	v_pk_add_f32 v[10:11], v[10:11], v[12:13] neg_lo:[0,1] neg_hi:[0,1]
	v_pk_add_f32 v[12:13], v[18:19], v[24:25] neg_lo:[0,1] neg_hi:[0,1]
	s_mov_b32 s0, s19
	v_pk_mul_f32 v[18:19], v[12:13], s[14:15] op_sel_hi:[1,0]
	v_pk_mul_f32 v[4:5], v[2:3], s[0:1] op_sel_hi:[1,0]
	v_pk_fma_f32 v[6:7], v[6:7], s[24:25], v[18:19] op_sel_hi:[1,0,1] neg_lo:[0,0,1] neg_hi:[0,0,1]
	v_pk_fma_f32 v[4:5], v[14:15], s[22:23], v[4:5] op_sel_hi:[1,0,1] neg_lo:[0,0,1] neg_hi:[0,0,1]
	v_pk_fma_f32 v[8:9], v[12:13], s[14:15], v[8:9] op_sel_hi:[1,0,1]
	v_pk_fma_f32 v[2:3], v[2:3], s[0:1], v[16:17] op_sel_hi:[1,0,1]
	v_pk_add_f32 v[6:7], v[6:7], v[20:21]
	v_pk_fma_f32 v[4:5], v[0:1], s[12:13], v[4:5] op_sel_hi:[1,0,1]
	v_pk_fma_f32 v[0:1], v[0:1], s[12:13], v[2:3] op_sel_hi:[1,0,1]
	v_pk_add_f32 v[12:13], v[6:7], v[4:5] op_sel:[0,1] op_sel_hi:[1,0] neg_lo:[0,1] neg_hi:[0,1]
	v_pk_add_f32 v[4:5], v[6:7], v[4:5] op_sel:[0,1] op_sel_hi:[1,0]
	v_pk_add_f32 v[6:7], v[8:9], v[20:21]
	v_mov_b32_e32 v57, v61
	v_pk_add_f32 v[190:191], v[6:7], v[0:1] op_sel:[0,1] op_sel_hi:[1,0] neg_lo:[0,1] neg_hi:[0,1]
	v_pk_add_f32 v[0:1], v[6:7], v[0:1] op_sel:[0,1] op_sel_hi:[1,0]
	v_mov_b32_e32 v3, v191
	v_mov_b32_e32 v2, v0
	ds_write_b64 v35, v[56:57] offset:48
	ds_write2_b64 v34, v[30:31], v[2:3] offset1:1
	v_mov_b32_e32 v2, v23
	v_mov_b32_e32 v3, v10
	;; [unrolled: 1-line block ×4, first 2 shown]
	ds_write2_b64 v34, v[2:3], v[6:7] offset0:2 offset1:3
	v_mov_b32_e32 v5, v13
	v_mov_b32_e32 v2, v11
	;; [unrolled: 1-line block ×4, first 2 shown]
	v_add_u32_e32 v0, 0x400, v86
	ds_write2_b64 v34, v[4:5], v[2:3] offset0:4 offset1:5
	ds_write_b64 v34, v[190:191] offset:48
	s_waitcnt lgkmcnt(0)
	; wave barrier
	s_waitcnt lgkmcnt(0)
	ds_read2_b64 v[64:67], v0 offset0:117 offset1:134
	ds_read2_b64 v[248:251], v51 offset0:24 offset1:41
	;; [unrolled: 1-line block ×10, first 2 shown]
	ds_read2_b64 v[194:197], v86 offset1:17
	ds_read2_b64 v[158:161], v86 offset0:35 offset1:52
	ds_read2_b64 v[154:157], v86 offset0:70 offset1:87
	ds_read2_b64 v[28:31], v86 offset0:105 offset1:122
	ds_read2_b64 v[142:145], v86 offset0:140 offset1:157
	ds_read2_b64 v[134:137], v86 offset0:175 offset1:192
	ds_read2_b64 v[126:129], v86 offset0:210 offset1:227
	v_accvgpr_write_b32 a217, v87
	v_accvgpr_write_b32 a2, v46
	;; [unrolled: 1-line block ×6, first 2 shown]
	v_cmp_eq_u16_e32 vcc, 0, v88
                                        ; implicit-def: $vgpr14
                                        ; implicit-def: $vgpr12
                                        ; implicit-def: $vgpr0
                                        ; implicit-def: $vgpr8
                                        ; implicit-def: $vgpr10
                                        ; implicit-def: $vgpr16
                                        ; implicit-def: $vgpr18
                                        ; implicit-def: $vgpr62
                                        ; implicit-def: $vgpr48
                                        ; implicit-def: $vgpr36
                                        ; implicit-def: $vgpr32
                                        ; implicit-def: $vgpr70
                                        ; implicit-def: $vgpr74
                                        ; implicit-def: $vgpr78
	s_and_saveexec_b64 s[0:1], vcc
	s_cbranch_execz .LBB0_3
; %bb.2:
	v_add_u32_e32 v0, 0x400, v96
	ds_read2_b64 v[190:193], v96 offset0:34 offset1:69
	ds_read2_b64 v[76:79], v96 offset0:104 offset1:139
	;; [unrolled: 1-line block ×4, first 2 shown]
	v_add_u32_e32 v0, 0x800, v96
	ds_read2_b64 v[60:63], v0 offset0:58 offset1:93
	ds_read2_b64 v[48:51], v0 offset0:128 offset1:163
	;; [unrolled: 1-line block ×3, first 2 shown]
	v_add_u32_e32 v0, 0x1000, v96
	ds_read2_b64 v[32:35], v0 offset0:12 offset1:47
	ds_read_b64 v[162:163], v96 offset:4752
	s_waitcnt lgkmcnt(4)
	v_mov_b32_e32 v166, v63
	s_waitcnt lgkmcnt(3)
	v_mov_b32_e32 v176, v49
	v_mov_b32_e32 v174, v51
	s_waitcnt lgkmcnt(2)
	v_mov_b32_e32 v172, v37
	;; [unrolled: 3-line block ×4, first 2 shown]
	v_mov_b32_e32 v164, v61
	v_mov_b32_e32 v178, v71
	;; [unrolled: 1-line block ×8, first 2 shown]
.LBB0_3:
	s_or_b64 exec, exec, s[0:1]
	v_mov_b32_e32 v2, 37
	v_mul_lo_u16_sdwa v1, v88, v2 dst_sel:DWORD dst_unused:UNUSED_PAD src0_sel:BYTE_0 src1_sel:DWORD
	v_sub_u16_sdwa v3, v88, v1 dst_sel:DWORD dst_unused:UNUSED_PAD src0_sel:DWORD src1_sel:BYTE_1
	v_lshrrev_b16_e32 v3, 1, v3
	v_and_b32_e32 v3, 0x7f, v3
	v_add_u16_sdwa v1, v3, v1 dst_sel:DWORD dst_unused:UNUSED_PAD src0_sel:DWORD src1_sel:BYTE_1
	v_lshrrev_b16_e32 v1, 2, v1
	v_mul_lo_u16_e32 v3, 7, v1
	v_sub_u16_e32 v37, v88, v3
	v_mov_b32_e32 v3, 7
	v_lshlrev_b32_sdwa v9, v3, v37 dst_sel:DWORD dst_unused:UNUSED_PAD src0_sel:DWORD src1_sel:BYTE_0
	global_load_dwordx4 v[146:149], v9, s[10:11]
	global_load_dwordx4 v[186:189], v9, s[10:11] offset:16
	global_load_dwordx4 v[150:153], v9, s[10:11] offset:48
	;; [unrolled: 1-line block ×3, first 2 shown]
	v_mul_lo_u16_sdwa v4, v84, v2 dst_sel:DWORD dst_unused:UNUSED_PAD src0_sel:BYTE_0 src1_sel:DWORD
	v_sub_u16_sdwa v5, v84, v4 dst_sel:DWORD dst_unused:UNUSED_PAD src0_sel:DWORD src1_sel:BYTE_1
	v_lshrrev_b16_e32 v5, 1, v5
	v_and_b32_e32 v5, 0x7f, v5
	v_add_u16_sdwa v4, v5, v4 dst_sel:DWORD dst_unused:UNUSED_PAD src0_sel:DWORD src1_sel:BYTE_1
	v_lshrrev_b16_e32 v5, 2, v4
	v_mul_lo_u16_e32 v4, 7, v5
	v_sub_u16_e32 v4, v84, v4
	v_lshlrev_b32_sdwa v40, v3, v4 dst_sel:DWORD dst_unused:UNUSED_PAD src0_sel:DWORD src1_sel:BYTE_0
	global_load_dwordx4 v[122:125], v40, s[10:11]
	global_load_dwordx4 v[130:133], v40, s[10:11] offset:16
	global_load_dwordx4 v[252:255], v40, s[10:11] offset:48
	;; [unrolled: 1-line block ×3, first 2 shown]
	v_mul_lo_u16_sdwa v2, v52, v2 dst_sel:DWORD dst_unused:UNUSED_PAD src0_sel:BYTE_0 src1_sel:DWORD
	v_sub_u16_sdwa v3, v52, v2 dst_sel:DWORD dst_unused:UNUSED_PAD src0_sel:DWORD src1_sel:BYTE_1
	v_lshrrev_b16_e32 v3, 1, v3
	v_and_b32_e32 v3, 0x7f, v3
	v_add_u16_sdwa v2, v3, v2 dst_sel:DWORD dst_unused:UNUSED_PAD src0_sel:DWORD src1_sel:BYTE_1
	v_lshrrev_b16_e32 v2, 2, v2
	v_mul_lo_u16_e32 v2, 7, v2
	v_sub_u16_e32 v2, v52, v2
	v_accvgpr_write_b32 a25, v2
	v_lshlrev_b16_e32 v2, 4, v2
	v_and_b32_e32 v2, 0xf0, v2
	v_lshlrev_b32_e32 v11, 3, v2
	v_accvgpr_write_b32 a24, v88
	global_load_dwordx4 v[86:89], v11, s[10:11] offset:48
	global_load_dwordx4 v[102:105], v11, s[10:11] offset:32
	global_load_dwordx4 v[106:109], v11, s[10:11] offset:16
	global_load_dwordx4 v[98:101], v11, s[10:11]
	global_load_dwordx4 v[114:117], v11, s[10:11] offset:80
	global_load_dwordx4 v[110:113], v11, s[10:11] offset:64
	;; [unrolled: 1-line block ×3, first 2 shown]
	v_accvgpr_write_b32 a8, v84
	v_accvgpr_write_b32 a6, v52
	;; [unrolled: 1-line block ×4, first 2 shown]
	s_mov_b32 s18, 0xbeb8f4ab
	s_mov_b32 s38, 0x3f6eb680
	;; [unrolled: 1-line block ×24, first 2 shown]
	s_waitcnt lgkmcnt(10)
	v_accvgpr_write_b32 a50, v208
	v_accvgpr_write_b32 a51, v209
	s_mov_b32 s70, s46
	s_mov_b32 s71, s26
	;; [unrolled: 1-line block ×10, first 2 shown]
	v_accvgpr_write_b32 a10, v190
	v_accvgpr_write_b32 a11, v191
	s_mov_b32 s64, s40
	s_mov_b32 s65, s50
	v_accvgpr_write_b32 a235, v221
	v_accvgpr_write_b32 a234, v220
	;; [unrolled: 1-line block ×6, first 2 shown]
	s_mov_b32 s72, s44
	s_waitcnt vmcnt(14)
	v_mov_b32_e32 v2, v147
	s_waitcnt vmcnt(13) lgkmcnt(2)
	v_pk_mul_f32 v[22:23], v[142:143], v[188:189] op_sel:[1,0] op_sel_hi:[0,1]
	s_waitcnt vmcnt(11) lgkmcnt(1)
	v_pk_mul_f32 v[24:25], v[134:135], v[182:183] op_sel:[1,0] op_sel_hi:[0,1]
	v_mov_b32_e32 v22, v183
	v_mov_b32_e32 v24, v185
	;; [unrolled: 1-line block ×3, first 2 shown]
	v_pk_mul_f32 v[22:23], v[134:135], v[22:23] op_sel:[1,0] op_sel_hi:[0,1]
	v_mov_b32_e32 v56, v25
	s_waitcnt lgkmcnt(0)
	v_pk_mul_f32 v[24:25], v[126:127], v[24:25] op_sel:[1,0] op_sel_hi:[0,1]
	v_pk_fma_f32 v[226:227], v[134:135], v[182:183], v[22:23] neg_lo:[0,0,1] neg_hi:[0,0,1]
	v_pk_fma_f32 v[222:223], v[126:127], v[184:185], v[24:25] neg_lo:[0,0,1] neg_hi:[0,0,1]
	global_load_dwordx4 v[22:25], v11, s[10:11] offset:96
	v_pk_mul_f32 v[42:43], v[64:65], v[150:151] op_sel:[1,0] op_sel_hi:[0,1]
	s_waitcnt vmcnt(11)
	v_mov_b32_e32 v42, v123
	v_pk_mul_f32 v[2:3], v[158:159], v[2:3] op_sel:[1,0] op_sel_hi:[0,1]
	v_mov_b32_e32 v82, v43
	v_pk_mul_f32 v[42:43], v[160:161], v[42:43] op_sel:[1,0] op_sel_hi:[0,1]
	v_pk_mul_f32 v[44:45], v[160:161], v[122:123] op_sel:[1,0] op_sel_hi:[0,1]
	v_pk_fma_f32 v[94:95], v[158:159], v[146:147], v[2:3] neg_lo:[0,0,1] neg_hi:[0,0,1]
	v_pk_fma_f32 v[2:3], v[160:161], v[122:123], v[42:43] neg_lo:[0,0,1] neg_hi:[0,0,1]
	v_mov_b32_e32 v84, v45
	v_accvgpr_write_b32 a15, v3
	v_accvgpr_write_b32 a14, v2
	v_pk_fma_f32 v[2:3], v[160:161], v[122:123], v[84:85] op_sel:[1,0,0] op_sel_hi:[0,1,1]
	v_accvgpr_write_b32 a19, v3
	v_accvgpr_write_b32 a18, v2
	v_mov_b32_e32 v2, v125
	v_pk_mul_f32 v[2:3], v[156:157], v[2:3] op_sel:[1,0] op_sel_hi:[0,1]
	v_pk_fma_f32 v[2:3], v[156:157], v[124:125], v[2:3] neg_lo:[0,0,1] neg_hi:[0,0,1]
	v_pk_mul_f32 v[20:21], v[28:29], v[186:187] op_sel:[1,0] op_sel_hi:[0,1]
	v_accvgpr_write_b32 a21, v3
	v_accvgpr_write_b32 a20, v2
	v_pk_mul_f32 v[2:3], v[156:157], v[124:125] op_sel:[1,0] op_sel_hi:[0,1]
	v_mov_b32_e32 v2, v3
	v_pk_fma_f32 v[2:3], v[156:157], v[124:125], v[2:3] op_sel:[1,0,0] op_sel_hi:[0,1,1]
	v_accvgpr_write_b32 a27, v3
	v_accvgpr_write_b32 a26, v2
	s_waitcnt vmcnt(10)
	v_mov_b32_e32 v2, v131
	v_pk_mul_f32 v[2:3], v[30:31], v[2:3] op_sel:[1,0] op_sel_hi:[0,1]
	v_pk_fma_f32 v[2:3], v[30:31], v[130:131], v[2:3] neg_lo:[0,0,1] neg_hi:[0,0,1]
	v_mov_b32_e32 v20, v189
	v_accvgpr_write_b32 a55, v3
	v_accvgpr_write_b32 a54, v2
	v_pk_mul_f32 v[2:3], v[30:31], v[130:131] op_sel:[1,0] op_sel_hi:[0,1]
	v_mov_b32_e32 v2, v3
	v_pk_fma_f32 v[2:3], v[30:31], v[130:131], v[2:3] op_sel:[1,0,0] op_sel_hi:[0,1,1]
	v_accvgpr_write_b32 a57, v3
	v_accvgpr_write_b32 a56, v2
	v_mov_b32_e32 v2, v133
	v_pk_mul_f32 v[2:3], v[144:145], v[2:3] op_sel:[1,0] op_sel_hi:[0,1]
	v_pk_fma_f32 v[2:3], v[144:145], v[132:133], v[2:3] neg_lo:[0,0,1] neg_hi:[0,0,1]
	v_mov_b32_e32 v52, v21
	v_accvgpr_write_b32 a59, v3
	v_accvgpr_write_b32 a58, v2
	v_pk_mul_f32 v[2:3], v[144:145], v[132:133] op_sel:[1,0] op_sel_hi:[0,1]
	v_mov_b32_e32 v2, v3
	v_pk_fma_f32 v[2:3], v[144:145], v[132:133], v[2:3] op_sel:[1,0,0] op_sel_hi:[0,1,1]
	v_accvgpr_write_b32 a61, v3
	v_accvgpr_write_b32 a60, v2
	s_waitcnt vmcnt(8)
	v_mov_b32_e32 v2, v139
	v_pk_mul_f32 v[2:3], v[136:137], v[2:3] op_sel:[1,0] op_sel_hi:[0,1]
	v_pk_fma_f32 v[2:3], v[136:137], v[138:139], v[2:3] neg_lo:[0,0,1] neg_hi:[0,0,1]
	v_pk_mul_f32 v[20:21], v[142:143], v[20:21] op_sel:[1,0] op_sel_hi:[0,1]
	v_accvgpr_write_b32 a65, v3
	v_accvgpr_write_b32 a64, v2
	v_pk_mul_f32 v[2:3], v[136:137], v[138:139] op_sel:[1,0] op_sel_hi:[0,1]
	v_mov_b32_e32 v2, v3
	v_pk_fma_f32 v[2:3], v[136:137], v[138:139], v[2:3] op_sel:[1,0,0] op_sel_hi:[0,1,1]
	v_accvgpr_write_b32 a71, v3
	v_accvgpr_write_b32 a70, v2
	v_mov_b32_e32 v2, v141
	v_pk_mul_f32 v[2:3], v[128:129], v[2:3] op_sel:[1,0] op_sel_hi:[0,1]
	v_pk_fma_f32 v[230:231], v[142:143], v[188:189], v[20:21] neg_lo:[0,0,1] neg_hi:[0,0,1]
	v_pk_fma_f32 v[2:3], v[128:129], v[140:141], v[2:3] neg_lo:[0,0,1] neg_hi:[0,0,1]
	v_pk_mul_f32 v[20:21], v[128:129], v[140:141] op_sel:[1,0] op_sel_hi:[0,1]
	v_accvgpr_write_b32 a63, v3
	v_mov_b32_e32 v20, v21
	v_accvgpr_write_b32 a62, v2
	v_pk_fma_f32 v[2:3], v[128:129], v[140:141], v[20:21] op_sel:[1,0,0] op_sel_hi:[0,1,1]
	v_mov_b32_e32 v20, v253
	v_accvgpr_write_b32 a67, v3
	v_pk_mul_f32 v[20:21], v[66:67], v[20:21] op_sel:[1,0] op_sel_hi:[0,1]
	v_accvgpr_write_b32 a66, v2
	v_pk_fma_f32 v[2:3], v[66:67], v[252:253], v[20:21] neg_lo:[0,0,1] neg_hi:[0,0,1]
	v_pk_mul_f32 v[20:21], v[66:67], v[252:253] op_sel:[1,0] op_sel_hi:[0,1]
	v_accvgpr_write_b32 a73, v3
	v_mov_b32_e32 v20, v21
	v_accvgpr_write_b32 a72, v2
	v_pk_fma_f32 v[2:3], v[66:67], v[252:253], v[20:21] op_sel:[1,0,0] op_sel_hi:[0,1,1]
	v_accvgpr_write_b32 a75, v3
	s_waitcnt vmcnt(4)
	v_pk_mul_f32 v[18:19], v[18:19], v[98:99] op_sel_hi:[0,1]
	v_accvgpr_write_b32 a74, v2
	v_pk_fma_f32 v[2:3], v[192:193], v[98:99], v[18:19] op_sel:[0,0,1] op_sel_hi:[1,1,0] neg_lo:[0,0,1] neg_hi:[0,0,1]
	v_pk_fma_f32 v[18:19], v[192:193], v[98:99], v[18:19] op_sel:[0,0,1] op_sel_hi:[0,1,0]
	v_pk_mul_f32 v[16:17], v[16:17], v[100:101] op_sel_hi:[0,1]
	v_mov_b32_e32 v3, v19
	v_pk_fma_f32 v[18:19], v[76:77], v[100:101], v[16:17] op_sel:[0,0,1] op_sel_hi:[1,1,0] neg_lo:[0,0,1] neg_hi:[0,0,1]
	v_pk_fma_f32 v[16:17], v[76:77], v[100:101], v[16:17] op_sel:[0,0,1] op_sel_hi:[0,1,0]
	s_waitcnt vmcnt(1)
	v_pk_mul_f32 v[14:15], v[14:15], v[118:119] op_sel_hi:[0,1]
	v_mov_b32_e32 v19, v17
	v_pk_fma_f32 v[16:17], v[34:35], v[118:119], v[14:15] op_sel:[0,0,1] op_sel_hi:[1,1,0] neg_lo:[0,0,1] neg_hi:[0,0,1]
	v_pk_fma_f32 v[14:15], v[34:35], v[118:119], v[14:15] op_sel:[0,0,1] op_sel_hi:[0,1,0]
	v_pk_mul_f32 v[12:13], v[12:13], v[120:121] op_sel_hi:[0,1]
	v_mov_b32_e32 v17, v15
	v_pk_fma_f32 v[14:15], v[162:163], v[120:121], v[12:13] op_sel:[0,0,1] op_sel_hi:[1,1,0] neg_lo:[0,0,1] neg_hi:[0,0,1]
	v_pk_fma_f32 v[12:13], v[162:163], v[120:121], v[12:13] op_sel:[0,0,1] op_sel_hi:[0,1,0]
	;; [unrolled: 4-line block ×3, first 2 shown]
	v_pk_mul_f32 v[6:7], v[154:155], v[148:149] op_sel:[1,0] op_sel_hi:[0,1]
	v_mov_b32_e32 v13, v11
	v_pk_mul_f32 v[10:11], v[8:9], v[108:109] op_sel_hi:[0,1]
	v_mov_b32_e32 v6, v187
	v_pk_fma_f32 v[20:21], v[72:73], v[108:109], v[10:11] op_sel:[0,0,1] op_sel_hi:[1,1,0] neg_lo:[0,0,1] neg_hi:[0,0,1]
	v_pk_fma_f32 v[10:11], v[72:73], v[108:109], v[10:11] op_sel:[0,0,1] op_sel_hi:[0,1,0]
	v_mov_b32_e32 v46, v7
	v_pk_mul_f32 v[6:7], v[28:29], v[6:7] op_sel:[1,0] op_sel_hi:[0,1]
	v_mov_b32_e32 v21, v11
	v_pk_mul_f32 v[10:11], v[180:181], v[102:103] op_sel_hi:[0,1]
	v_pk_mul_f32 v[4:5], v[158:159], v[146:147] op_sel:[1,0] op_sel_hi:[0,1]
	v_pk_fma_f32 v[234:235], v[28:29], v[186:187], v[6:7] neg_lo:[0,0,1] neg_hi:[0,0,1]
	v_pk_fma_f32 v[232:233], v[28:29], v[186:187], v[52:53] op_sel:[1,0,0] op_sel_hi:[0,1,1]
	v_pk_fma_f32 v[28:29], v[74:75], v[102:103], v[10:11] op_sel:[0,0,1] op_sel_hi:[1,1,0] neg_lo:[0,0,1] neg_hi:[0,0,1]
	v_pk_fma_f32 v[10:11], v[74:75], v[102:103], v[10:11] op_sel:[0,0,1] op_sel_hi:[0,1,0]
	v_mov_b32_e32 v44, v5
	v_mov_b32_e32 v29, v11
	v_pk_mul_f32 v[10:11], v[0:1], v[104:105] op_sel_hi:[0,1]
	v_pk_fma_f32 v[92:93], v[158:159], v[146:147], v[44:45] op_sel:[1,0,0] op_sel_hi:[0,1,1]
	v_pk_fma_f32 v[44:45], v[68:69], v[104:105], v[10:11] op_sel:[0,0,1] op_sel_hi:[1,1,0] neg_lo:[0,0,1] neg_hi:[0,0,1]
	v_pk_fma_f32 v[10:11], v[68:69], v[104:105], v[10:11] op_sel:[0,0,1] op_sel_hi:[0,1,0]
	v_pk_mul_f32 v[26:27], v[126:127], v[184:185] op_sel:[1,0] op_sel_hi:[0,1]
	v_mov_b32_e32 v45, v11
	v_pk_mul_f32 v[10:11], v[178:179], v[86:87] op_sel_hi:[0,1]
	v_mov_b32_e32 v4, v149
	v_mov_b32_e32 v26, v151
	v_pk_fma_f32 v[236:237], v[154:155], v[148:149], v[46:47] op_sel:[1,0,0] op_sel_hi:[0,1,1]
	v_pk_fma_f32 v[46:47], v[70:71], v[86:87], v[10:11] op_sel:[0,0,1] op_sel_hi:[1,1,0] neg_lo:[0,0,1] neg_hi:[0,0,1]
	v_pk_fma_f32 v[10:11], v[70:71], v[86:87], v[10:11] op_sel:[0,0,1] op_sel_hi:[0,1,0]
	v_pk_mul_f32 v[4:5], v[154:155], v[4:5] op_sel:[1,0] op_sel_hi:[0,1]
	v_pk_mul_f32 v[80:81], v[64:65], v[26:27] op_sel:[1,0] op_sel_hi:[0,1]
	v_mov_b32_e32 v47, v11
	v_pk_mul_f32 v[10:11], v[164:165], v[88:89] op_sel_hi:[0,1]
	v_pk_fma_f32 v[238:239], v[154:155], v[148:149], v[4:5] neg_lo:[0,0,1] neg_hi:[0,0,1]
	v_pk_fma_f32 v[6:7], v[64:65], v[150:151], v[80:81] neg_lo:[0,0,1] neg_hi:[0,0,1]
	v_pk_fma_f32 v[4:5], v[64:65], v[150:151], v[82:83] op_sel:[1,0,0] op_sel_hi:[0,1,1]
	v_pk_fma_f32 v[64:65], v[60:61], v[88:89], v[10:11] op_sel:[0,0,1] op_sel_hi:[1,1,0] neg_lo:[0,0,1] neg_hi:[0,0,1]
	v_pk_fma_f32 v[10:11], v[60:61], v[88:89], v[10:11] op_sel:[0,0,1] op_sel_hi:[0,1,0]
	v_accvgpr_write_b32 a76, v86
	v_mov_b32_e32 v65, v11
	v_pk_mul_f32 v[10:11], v[166:167], v[110:111] op_sel_hi:[0,1]
	v_accvgpr_write_b32 a77, v87
	v_accvgpr_write_b32 a78, v88
	;; [unrolled: 1-line block ×3, first 2 shown]
	v_pk_fma_f32 v[86:87], v[62:63], v[110:111], v[10:11] op_sel:[0,0,1] op_sel_hi:[1,1,0] neg_lo:[0,0,1] neg_hi:[0,0,1]
	v_pk_fma_f32 v[10:11], v[62:63], v[110:111], v[10:11] op_sel:[0,0,1] op_sel_hi:[0,1,0]
	v_mov_b32_e32 v87, v11
	v_pk_mul_f32 v[10:11], v[176:177], v[112:113] op_sel_hi:[0,1]
	v_pk_fma_f32 v[52:53], v[48:49], v[112:113], v[10:11] op_sel:[0,0,1] op_sel_hi:[1,1,0] neg_lo:[0,0,1] neg_hi:[0,0,1]
	v_pk_fma_f32 v[10:11], v[48:49], v[112:113], v[10:11] op_sel:[0,0,1] op_sel_hi:[0,1,0]
	v_mov_b32_e32 v53, v11
	v_pk_mul_f32 v[10:11], v[174:175], v[114:115] op_sel_hi:[0,1]
	v_pk_fma_f32 v[228:229], v[142:143], v[188:189], v[54:55] op_sel:[1,0,0] op_sel_hi:[0,1,1]
	v_pk_fma_f32 v[54:55], v[50:51], v[114:115], v[10:11] op_sel:[0,0,1] op_sel_hi:[1,1,0] neg_lo:[0,0,1] neg_hi:[0,0,1]
	v_pk_fma_f32 v[10:11], v[50:51], v[114:115], v[10:11] op_sel:[0,0,1] op_sel_hi:[0,1,0]
	v_mov_b32_e32 v55, v11
	v_pk_mul_f32 v[10:11], v[172:173], v[116:117] op_sel_hi:[0,1]
	v_pk_fma_f32 v[30:31], v[36:37], v[116:117], v[10:11] op_sel:[0,0,1] op_sel_hi:[1,1,0] neg_lo:[0,0,1] neg_hi:[0,0,1]
	v_pk_fma_f32 v[10:11], v[36:37], v[116:117], v[10:11] op_sel:[0,0,1] op_sel_hi:[0,1,0]
	v_mov_b32_e32 v31, v11
	s_waitcnt vmcnt(0)
	v_pk_mul_f32 v[10:11], v[170:171], v[22:23] op_sel_hi:[0,1]
	v_pk_fma_f32 v[34:35], v[38:39], v[22:23], v[10:11] op_sel:[0,0,1] op_sel_hi:[1,1,0] neg_lo:[0,0,1] neg_hi:[0,0,1]
	v_pk_fma_f32 v[10:11], v[38:39], v[22:23], v[10:11] op_sel:[0,0,1] op_sel_hi:[0,1,0]
	v_mov_b32_e32 v35, v11
	v_pk_mul_f32 v[10:11], v[168:169], v[24:25] op_sel_hi:[0,1]
	v_pk_fma_f32 v[42:43], v[32:33], v[24:25], v[10:11] op_sel:[0,0,1] op_sel_hi:[1,1,0] neg_lo:[0,0,1] neg_hi:[0,0,1]
	v_pk_fma_f32 v[10:11], v[32:33], v[24:25], v[10:11] op_sel:[0,0,1] op_sel_hi:[0,1,0]
	v_pk_add_f32 v[66:67], v[2:3], v[14:15] neg_lo:[0,1] neg_hi:[0,1]
	v_mov_b32_e32 v43, v11
	v_pk_add_f32 v[50:51], v[2:3], v[14:15]
	v_accvgpr_write_b32 a16, v16
	v_pk_add_f32 v[70:71], v[18:19], v[16:17] neg_lo:[0,1] neg_hi:[0,1]
	v_accvgpr_write_b32 a33, v13
	v_pk_mul_f32 v[10:11], v[66:67], s[18:19] op_sel:[1,0] op_sel_hi:[0,0]
	v_accvgpr_write_b32 a107, v25
	v_accvgpr_write_b32 a23, v15
	v_pk_add_f32 v[68:69], v[18:19], v[16:17]
	v_accvgpr_write_b32 a12, v18
	v_accvgpr_write_b32 a17, v17
	v_pk_add_f32 v[38:39], v[12:13], v[42:43]
	v_accvgpr_write_b32 a32, v12
	v_pk_add_f32 v[60:61], v[12:13], v[42:43] neg_lo:[0,1] neg_hi:[0,1]
	v_pk_fma_f32 v[12:13], v[50:51], s[38:39], v[10:11] op_sel_hi:[1,0,1]
	v_pk_fma_f32 v[10:11], v[50:51], s[38:39], v[10:11] op_sel_hi:[1,0,1] neg_lo:[0,0,1] neg_hi:[0,0,1]
	v_pk_mul_f32 v[16:17], v[70:71], s[14:15] op_sel:[1,0] op_sel_hi:[0,0]
	v_accvgpr_write_b32 a106, v24
	v_accvgpr_write_b32 a105, v23
	;; [unrolled: 1-line block ×7, first 2 shown]
	v_pk_add_f32 v[62:63], v[20:21], v[34:35] neg_lo:[0,1] neg_hi:[0,1]
	v_accvgpr_write_b32 a201, v31
	v_mov_b32_e32 v15, v11
	v_pk_fma_f32 v[18:19], v[68:69], s[40:41], v[16:17] op_sel_hi:[1,0,1]
	v_pk_fma_f32 v[16:17], v[68:69], s[40:41], v[16:17] op_sel_hi:[1,0,1] neg_lo:[0,0,1] neg_hi:[0,0,1]
	v_pk_mul_f32 v[22:23], v[60:61], s[12:13] op_sel:[1,0] op_sel_hi:[0,0]
	v_mov_b32_e32 v11, v13
	v_accvgpr_write_b32 a205, v43
	v_pk_add_f32 v[48:49], v[20:21], v[34:35]
	v_accvgpr_write_b32 a36, v20
	v_accvgpr_write_b32 a202, v34
	v_pk_add_f32 v[32:33], v[28:29], v[30:31]
	v_accvgpr_write_b32 a41, v29
	v_accvgpr_write_b32 a200, v30
	v_pk_add_f32 v[34:35], v[28:29], v[30:31] neg_lo:[0,1] neg_hi:[0,1]
	v_mov_b32_e32 v21, v17
	v_pk_fma_f32 v[24:25], v[38:39], s[52:53], v[22:23] op_sel_hi:[1,0,1]
	v_pk_fma_f32 v[22:23], v[38:39], s[52:53], v[22:23] op_sel_hi:[1,0,1] neg_lo:[0,0,1] neg_hi:[0,0,1]
	v_pk_mul_f32 v[30:31], v[62:63], s[16:17] op_sel:[1,0] op_sel_hi:[0,0]
	v_pk_add_f32 v[10:11], v[190:191], v[10:11]
	v_mov_b32_e32 v17, v19
	v_accvgpr_write_b32 a204, v42
	v_accvgpr_write_b32 a40, v28
	v_mov_b32_e32 v29, v23
	v_pk_fma_f32 v[42:43], v[48:49], s[42:43], v[30:31] op_sel_hi:[1,0,1]
	v_pk_fma_f32 v[30:31], v[48:49], s[42:43], v[30:31] op_sel_hi:[1,0,1] neg_lo:[0,0,1] neg_hi:[0,0,1]
	v_pk_add_f32 v[10:11], v[16:17], v[10:11]
	v_mov_b32_e32 v23, v25
	v_pk_mul_f32 v[16:17], v[34:35], s[0:1] op_sel:[1,0] op_sel_hi:[0,0]
	v_mov_b32_e32 v13, v31
	v_pk_add_f32 v[10:11], v[22:23], v[10:11]
	v_mov_b32_e32 v31, v43
	v_pk_fma_f32 v[22:23], v[32:33], s[36:37], v[16:17] op_sel_hi:[1,0,1]
	v_pk_fma_f32 v[16:17], v[32:33], s[36:37], v[16:17] op_sel_hi:[1,0,1] neg_lo:[0,0,1] neg_hi:[0,0,1]
	v_pk_add_f32 v[10:11], v[30:31], v[10:11]
	v_mov_b32_e32 v19, v17
	v_mov_b32_e32 v17, v23
	v_pk_add_f32 v[78:79], v[44:45], v[54:55] neg_lo:[0,1] neg_hi:[0,1]
	v_pk_add_f32 v[10:11], v[16:17], v[10:11]
	v_pk_add_f32 v[74:75], v[44:45], v[54:55]
	v_pk_mul_f32 v[16:17], v[78:79], s[20:21] op_sel:[1,0] op_sel_hi:[0,0]
	v_pk_fma_f32 v[30:31], v[74:75], s[44:45], v[16:17] op_sel_hi:[1,0,1]
	v_pk_fma_f32 v[16:17], v[74:75], s[44:45], v[16:17] op_sel_hi:[1,0,1] neg_lo:[0,0,1] neg_hi:[0,0,1]
	v_pk_add_f32 v[76:77], v[46:47], v[52:53] neg_lo:[0,1] neg_hi:[0,1]
	v_mov_b32_e32 v23, v17
	v_mov_b32_e32 v17, v31
	v_accvgpr_write_b32 a42, v44
	v_pk_add_f32 v[10:11], v[16:17], v[10:11]
	v_pk_add_f32 v[72:73], v[46:47], v[52:53]
	v_pk_mul_f32 v[16:17], v[76:77], s[22:23] op_sel:[1,0] op_sel_hi:[0,0]
	v_accvgpr_write_b32 a43, v45
	v_pk_fma_f32 v[44:45], v[72:73], s[46:47], v[16:17] op_sel_hi:[1,0,1]
	v_pk_fma_f32 v[16:17], v[72:73], s[46:47], v[16:17] op_sel_hi:[1,0,1] neg_lo:[0,0,1] neg_hi:[0,0,1]
	v_accvgpr_write_b32 a46, v46
	v_mov_b32_e32 v25, v17
	v_mov_b32_e32 v17, v45
	v_accvgpr_write_b32 a197, v53
	v_pk_add_f32 v[10:11], v[16:17], v[10:11]
	v_pk_mul_f32 v[16:17], v[66:67], s[14:15] op_sel:[1,0] op_sel_hi:[0,0]
	v_accvgpr_write_b32 a199, v55
	v_accvgpr_write_b32 a47, v47
	v_accvgpr_write_b32 a196, v52
	v_pk_fma_f32 v[46:47], v[50:51], s[40:41], v[16:17] op_sel_hi:[1,0,1]
	v_pk_fma_f32 v[16:17], v[50:51], s[40:41], v[16:17] op_sel_hi:[1,0,1] neg_lo:[0,0,1] neg_hi:[0,0,1]
	v_pk_mul_f32 v[52:53], v[70:71], s[16:17] op_sel:[1,0] op_sel_hi:[0,0]
	v_accvgpr_write_b32 a198, v54
	v_pk_fma_f32 v[54:55], v[68:69], s[42:43], v[52:53] op_sel_hi:[1,0,1]
	v_pk_fma_f32 v[52:53], v[68:69], s[42:43], v[52:53] op_sel_hi:[1,0,1] neg_lo:[0,0,1] neg_hi:[0,0,1]
	v_mov_b32_e32 v31, v17
	v_mov_b32_e32 v17, v47
	v_pk_add_f32 v[16:17], v[190:191], v[16:17]
	v_mov_b32_e32 v43, v53
	v_mov_b32_e32 v53, v55
	v_pk_add_f32 v[16:17], v[52:53], v[16:17]
	v_pk_mul_f32 v[52:53], v[60:61], s[20:21] op_sel:[1,0] op_sel_hi:[0,0]
	v_pk_fma_f32 v[224:225], v[134:135], v[182:183], v[56:57] op_sel:[1,0,0] op_sel_hi:[0,1,1]
	v_pk_fma_f32 v[56:57], v[38:39], s[44:45], v[52:53] op_sel_hi:[1,0,1]
	v_pk_fma_f32 v[52:53], v[38:39], s[44:45], v[52:53] op_sel_hi:[1,0,1] neg_lo:[0,0,1] neg_hi:[0,0,1]
	v_mov_b32_e32 v58, v27
	v_mov_b32_e32 v45, v53
	;; [unrolled: 1-line block ×3, first 2 shown]
	v_pk_add_f32 v[16:17], v[52:53], v[16:17]
	v_pk_mul_f32 v[52:53], v[62:63], s[24:25] op_sel:[1,0] op_sel_hi:[0,0]
	v_pk_fma_f32 v[26:27], v[126:127], v[184:185], v[58:59] op_sel:[1,0,0] op_sel_hi:[0,1,1]
	v_pk_fma_f32 v[58:59], v[48:49], s[54:55], v[52:53] op_sel_hi:[1,0,1]
	v_pk_fma_f32 v[52:53], v[48:49], s[54:55], v[52:53] op_sel_hi:[1,0,1] neg_lo:[0,0,1] neg_hi:[0,0,1]
	v_mov_b32_e32 v14, v12
	v_mov_b32_e32 v47, v53
	;; [unrolled: 1-line block ×3, first 2 shown]
	v_pk_add_f32 v[16:17], v[52:53], v[16:17]
	v_pk_mul_f32 v[52:53], v[34:35], s[26:27] op_sel:[1,0] op_sel_hi:[0,0]
	v_pk_fma_f32 v[80:81], v[32:33], s[46:47], v[52:53] op_sel_hi:[1,0,1]
	v_pk_fma_f32 v[52:53], v[32:33], s[46:47], v[52:53] op_sel_hi:[1,0,1] neg_lo:[0,0,1] neg_hi:[0,0,1]
	v_mov_b32_e32 v20, v18
	v_mov_b32_e32 v55, v53
	;; [unrolled: 1-line block ×3, first 2 shown]
	v_pk_add_f32 v[16:17], v[52:53], v[16:17]
	v_pk_mul_f32 v[52:53], v[78:79], s[28:29] op_sel:[1,0] op_sel_hi:[0,0]
	v_pk_fma_f32 v[82:83], v[74:75], s[36:37], v[52:53] op_sel_hi:[1,0,1]
	v_pk_fma_f32 v[52:53], v[74:75], s[36:37], v[52:53] op_sel_hi:[1,0,1] neg_lo:[0,0,1] neg_hi:[0,0,1]
	v_pk_add_f32 v[14:15], v[190:191], v[14:15]
	v_mov_b32_e32 v57, v53
	v_mov_b32_e32 v53, v83
	v_pk_add_f32 v[16:17], v[52:53], v[16:17]
	v_pk_mul_f32 v[52:53], v[76:77], s[30:31] op_sel:[1,0] op_sel_hi:[0,0]
	v_pk_add_f32 v[14:15], v[20:21], v[14:15]
	v_mov_b32_e32 v28, v24
	v_pk_fma_f32 v[84:85], v[72:73], s[52:53], v[52:53] op_sel_hi:[1,0,1]
	v_pk_fma_f32 v[52:53], v[72:73], s[52:53], v[52:53] op_sel_hi:[1,0,1] neg_lo:[0,0,1] neg_hi:[0,0,1]
	v_pk_add_f32 v[14:15], v[28:29], v[14:15]
	v_mov_b32_e32 v12, v42
	v_mov_b32_e32 v18, v22
	;; [unrolled: 1-line block ×6, first 2 shown]
	v_pk_add_f32 v[136:137], v[64:65], v[86:87] neg_lo:[0,1] neg_hi:[0,1]
	v_pk_add_f32 v[12:13], v[12:13], v[14:15]
	v_mov_b32_e32 v42, v54
	v_pk_add_f32 v[14:15], v[190:191], v[30:31]
	v_pk_add_f32 v[16:17], v[52:53], v[16:17]
	;; [unrolled: 1-line block ×3, first 2 shown]
	v_accvgpr_write_b32 a68, v86
	v_pk_mul_f32 v[52:53], v[136:137], s[24:25] op_sel:[1,0] op_sel_hi:[0,0]
	v_mov_b32_e32 v24, v44
	v_pk_add_f32 v[14:15], v[42:43], v[14:15]
	v_mov_b32_e32 v44, v56
	v_accvgpr_write_b32 a69, v87
	v_pk_fma_f32 v[86:87], v[128:129], s[54:55], v[52:53] op_sel_hi:[1,0,1] neg_lo:[0,0,1] neg_hi:[0,0,1]
	v_pk_fma_f32 v[52:53], v[128:129], s[54:55], v[52:53] op_sel_hi:[1,0,1]
	v_pk_add_f32 v[14:15], v[44:45], v[14:15]
	v_mov_b32_e32 v46, v58
	v_mov_b32_e32 v88, v86
	;; [unrolled: 1-line block ×3, first 2 shown]
	v_pk_add_f32 v[12:13], v[18:19], v[12:13]
	v_pk_add_f32 v[14:15], v[46:47], v[14:15]
	v_mov_b32_e32 v54, v80
	scratch_store_dwordx4 off, v[98:101], off offset:268 ; 16-byte Folded Spill
	v_pk_add_f32 v[12:13], v[22:23], v[12:13]
	v_pk_add_f32 v[14:15], v[54:55], v[14:15]
	;; [unrolled: 1-line block ×3, first 2 shown]
	v_pk_mul_f32 v[10:11], v[136:137], s[34:35] op_sel:[1,0] op_sel_hi:[0,0]
	v_mov_b32_e32 v56, v82
	v_pk_fma_f32 v[88:89], v[128:129], s[38:39], v[10:11] op_sel_hi:[1,0,1] neg_lo:[0,0,1] neg_hi:[0,0,1]
	v_pk_fma_f32 v[10:11], v[128:129], s[38:39], v[10:11] op_sel_hi:[1,0,1]
	v_pk_add_f32 v[12:13], v[24:25], v[12:13]
	v_mov_b32_e32 v53, v87
	v_pk_add_f32 v[14:15], v[56:57], v[14:15]
	v_mov_b32_e32 v58, v84
	v_mov_b32_e32 v91, v11
	v_pk_add_f32 v[14:15], v[58:59], v[14:15]
	v_mov_b32_e32 v11, v89
	v_pk_add_f32 v[12:13], v[52:53], v[12:13]
	v_pk_add_f32 v[10:11], v[10:11], v[14:15]
	v_mov_b32_e32 v90, v88
	v_accvgpr_write_b32 a115, v13
	v_accvgpr_write_b32 a114, v12
	;; [unrolled: 1-line block ×4, first 2 shown]
	v_pk_mul_f32 v[10:11], v[66:67], s[12:13] op_sel:[1,0] op_sel_hi:[0,0]
	v_pk_fma_f32 v[12:13], v[50:51], s[52:53], v[10:11] op_sel_hi:[1,0,1]
	v_pk_fma_f32 v[10:11], v[50:51], s[52:53], v[10:11] op_sel_hi:[1,0,1] neg_lo:[0,0,1] neg_hi:[0,0,1]
	v_pk_mul_f32 v[14:15], v[70:71], s[20:21] op_sel:[1,0] op_sel_hi:[0,0]
	v_pk_add_f32 v[100:101], v[90:91], v[16:17]
	v_pk_fma_f32 v[16:17], v[68:69], s[44:45], v[14:15] op_sel_hi:[1,0,1]
	v_pk_fma_f32 v[14:15], v[68:69], s[44:45], v[14:15] op_sel_hi:[1,0,1] neg_lo:[0,0,1] neg_hi:[0,0,1]
	v_mov_b32_e32 v19, v11
	v_mov_b32_e32 v11, v13
	v_pk_add_f32 v[10:11], v[190:191], v[10:11]
	v_mov_b32_e32 v13, v15
	v_mov_b32_e32 v15, v17
	v_pk_add_f32 v[10:11], v[14:15], v[10:11]
	v_pk_mul_f32 v[14:15], v[60:61], s[48:49] op_sel:[1,0] op_sel_hi:[0,0]
	v_pk_fma_f32 v[20:21], v[38:39], s[54:55], v[14:15] op_sel_hi:[1,0,1]
	v_pk_fma_f32 v[14:15], v[38:39], s[54:55], v[14:15] op_sel_hi:[1,0,1] neg_lo:[0,0,1] neg_hi:[0,0,1]
	v_pk_mul_f32 v[44:45], v[70:71], s[24:25] op_sel:[1,0] op_sel_hi:[0,0]
	v_mov_b32_e32 v17, v15
	v_mov_b32_e32 v15, v21
	v_pk_add_f32 v[10:11], v[14:15], v[10:11]
	v_pk_mul_f32 v[14:15], v[62:63], s[28:29] op_sel:[1,0] op_sel_hi:[0,0]
	v_pk_fma_f32 v[22:23], v[48:49], s[36:37], v[14:15] op_sel_hi:[1,0,1]
	v_pk_fma_f32 v[14:15], v[48:49], s[36:37], v[14:15] op_sel_hi:[1,0,1] neg_lo:[0,0,1] neg_hi:[0,0,1]
	v_pk_fma_f32 v[46:47], v[68:69], s[54:55], v[44:45] op_sel_hi:[1,0,1]
	v_mov_b32_e32 v21, v15
	v_mov_b32_e32 v15, v23
	v_pk_add_f32 v[10:11], v[14:15], v[10:11]
	v_pk_mul_f32 v[14:15], v[34:35], s[50:51] op_sel:[1,0] op_sel_hi:[0,0]
	v_pk_fma_f32 v[24:25], v[32:33], s[40:41], v[14:15] op_sel_hi:[1,0,1]
	v_pk_fma_f32 v[14:15], v[32:33], s[40:41], v[14:15] op_sel_hi:[1,0,1] neg_lo:[0,0,1] neg_hi:[0,0,1]
	v_pk_fma_f32 v[44:45], v[68:69], s[54:55], v[44:45] op_sel_hi:[1,0,1] neg_lo:[0,0,1] neg_hi:[0,0,1]
	v_mov_b32_e32 v23, v15
	v_mov_b32_e32 v15, v25
	v_pk_add_f32 v[10:11], v[14:15], v[10:11]
	v_pk_mul_f32 v[14:15], v[78:79], s[18:19] op_sel:[1,0] op_sel_hi:[0,0]
	v_pk_fma_f32 v[28:29], v[74:75], s[38:39], v[14:15] op_sel_hi:[1,0,1]
	v_pk_fma_f32 v[14:15], v[74:75], s[38:39], v[14:15] op_sel_hi:[1,0,1] neg_lo:[0,0,1] neg_hi:[0,0,1]
	v_mov_b32_e32 v18, v12
	v_mov_b32_e32 v25, v15
	v_mov_b32_e32 v15, v29
	v_pk_add_f32 v[10:11], v[14:15], v[10:11]
	v_pk_mul_f32 v[14:15], v[76:77], s[16:17] op_sel:[1,0] op_sel_hi:[0,0]
	v_pk_fma_f32 v[30:31], v[72:73], s[42:43], v[14:15] op_sel_hi:[1,0,1]
	v_pk_fma_f32 v[14:15], v[72:73], s[42:43], v[14:15] op_sel_hi:[1,0,1] neg_lo:[0,0,1] neg_hi:[0,0,1]
	v_mov_b32_e32 v12, v16
	v_mov_b32_e32 v29, v15
	v_mov_b32_e32 v15, v31
	v_pk_add_f32 v[10:11], v[14:15], v[10:11]
	v_pk_mul_f32 v[14:15], v[66:67], s[16:17] op_sel:[1,0] op_sel_hi:[0,0]
	v_pk_fma_f32 v[42:43], v[50:51], s[42:43], v[14:15] op_sel_hi:[1,0,1]
	v_pk_fma_f32 v[14:15], v[50:51], s[42:43], v[14:15] op_sel_hi:[1,0,1] neg_lo:[0,0,1] neg_hi:[0,0,1]
	v_mov_b32_e32 v16, v20
	v_mov_b32_e32 v31, v15
	v_mov_b32_e32 v15, v43
	v_pk_add_f32 v[14:15], v[190:191], v[14:15]
	v_mov_b32_e32 v43, v45
	v_mov_b32_e32 v45, v47
	v_pk_add_f32 v[14:15], v[44:45], v[14:15]
	v_pk_mul_f32 v[44:45], v[60:61], s[28:29] op_sel:[1,0] op_sel_hi:[0,0]
	v_pk_fma_f32 v[52:53], v[38:39], s[36:37], v[44:45] op_sel_hi:[1,0,1]
	v_pk_fma_f32 v[44:45], v[38:39], s[36:37], v[44:45] op_sel_hi:[1,0,1] neg_lo:[0,0,1] neg_hi:[0,0,1]
	v_mov_b32_e32 v20, v22
	v_mov_b32_e32 v47, v45
	v_mov_b32_e32 v45, v53
	v_pk_add_f32 v[14:15], v[44:45], v[14:15]
	v_pk_mul_f32 v[44:45], v[62:63], s[34:35] op_sel:[1,0] op_sel_hi:[0,0]
	v_pk_fma_f32 v[54:55], v[48:49], s[38:39], v[44:45] op_sel_hi:[1,0,1]
	v_pk_fma_f32 v[44:45], v[48:49], s[38:39], v[44:45] op_sel_hi:[1,0,1] neg_lo:[0,0,1] neg_hi:[0,0,1]
	v_mov_b32_e32 v22, v24
	;; [unrolled: 7-line block ×5, first 2 shown]
	v_mov_b32_e32 v59, v45
	v_mov_b32_e32 v45, v81
	v_pk_add_f32 v[14:15], v[44:45], v[14:15]
	v_pk_mul_f32 v[44:45], v[136:137], s[22:23] op_sel:[1,0] op_sel_hi:[0,0]
	v_pk_fma_f32 v[82:83], v[128:129], s[46:47], v[44:45] op_sel_hi:[1,0,1] neg_lo:[0,0,1] neg_hi:[0,0,1]
	v_pk_fma_f32 v[44:45], v[128:129], s[46:47], v[44:45] op_sel_hi:[1,0,1]
	v_mov_b32_e32 v84, v82
	v_mov_b32_e32 v85, v45
	v_pk_add_f32 v[88:89], v[84:85], v[10:11]
	v_pk_mul_f32 v[10:11], v[136:137], s[50:51] op_sel:[1,0] op_sel_hi:[0,0]
	v_pk_fma_f32 v[84:85], v[128:129], s[40:41], v[10:11] op_sel_hi:[1,0,1] neg_lo:[0,0,1] neg_hi:[0,0,1]
	v_pk_fma_f32 v[10:11], v[128:129], s[40:41], v[10:11] op_sel_hi:[1,0,1]
	v_mov_b32_e32 v86, v84
	v_mov_b32_e32 v87, v11
	v_pk_add_f32 v[90:91], v[86:87], v[14:15]
	v_pk_add_f32 v[14:15], v[190:191], v[18:19]
	v_mov_b32_e32 v42, v46
	v_pk_add_f32 v[12:13], v[12:13], v[14:15]
	v_pk_add_f32 v[14:15], v[190:191], v[30:31]
	v_pk_add_f32 v[12:13], v[16:17], v[12:13]
	v_pk_add_f32 v[14:15], v[42:43], v[14:15]
	v_mov_b32_e32 v46, v52
	v_pk_add_f32 v[12:13], v[20:21], v[12:13]
	v_pk_add_f32 v[14:15], v[46:47], v[14:15]
	v_mov_b32_e32 v52, v54
	v_pk_add_f32 v[12:13], v[22:23], v[12:13]
	v_pk_add_f32 v[14:15], v[52:53], v[14:15]
	;; [unrolled: 3-line block ×3, first 2 shown]
	v_mov_b32_e32 v56, v58
	v_pk_add_f32 v[12:13], v[28:29], v[12:13]
	v_mov_b32_e32 v45, v83
	v_pk_add_f32 v[14:15], v[56:57], v[14:15]
	;; [unrolled: 2-line block ×4, first 2 shown]
	v_pk_add_f32 v[10:11], v[10:11], v[14:15]
	v_pk_mul_f32 v[14:15], v[70:71], s[26:27] op_sel:[1,0] op_sel_hi:[0,0]
	v_accvgpr_write_b32 a139, v13
	v_accvgpr_write_b32 a138, v12
	;; [unrolled: 1-line block ×4, first 2 shown]
	v_pk_mul_f32 v[10:11], v[66:67], s[0:1] op_sel:[1,0] op_sel_hi:[0,0]
	v_pk_fma_f32 v[12:13], v[50:51], s[36:37], v[10:11] op_sel_hi:[1,0,1]
	v_pk_fma_f32 v[10:11], v[50:51], s[36:37], v[10:11] op_sel_hi:[1,0,1] neg_lo:[0,0,1] neg_hi:[0,0,1]
	v_pk_fma_f32 v[16:17], v[68:69], s[46:47], v[14:15] op_sel_hi:[1,0,1]
	v_pk_fma_f32 v[14:15], v[68:69], s[46:47], v[14:15] op_sel_hi:[1,0,1] neg_lo:[0,0,1] neg_hi:[0,0,1]
	v_mov_b32_e32 v19, v11
	v_mov_b32_e32 v11, v13
	v_pk_add_f32 v[10:11], v[190:191], v[10:11]
	v_mov_b32_e32 v13, v15
	v_mov_b32_e32 v15, v17
	v_pk_add_f32 v[10:11], v[14:15], v[10:11]
	v_pk_mul_f32 v[14:15], v[60:61], s[50:51] op_sel:[1,0] op_sel_hi:[0,0]
	v_pk_fma_f32 v[20:21], v[38:39], s[40:41], v[14:15] op_sel_hi:[1,0,1]
	v_pk_fma_f32 v[14:15], v[38:39], s[40:41], v[14:15] op_sel_hi:[1,0,1] neg_lo:[0,0,1] neg_hi:[0,0,1]
	v_pk_mul_f32 v[44:45], v[70:71], s[28:29] op_sel:[1,0] op_sel_hi:[0,0]
	v_mov_b32_e32 v17, v15
	v_mov_b32_e32 v15, v21
	v_pk_add_f32 v[10:11], v[14:15], v[10:11]
	v_pk_mul_f32 v[14:15], v[62:63], s[12:13] op_sel:[1,0] op_sel_hi:[0,0]
	v_pk_fma_f32 v[22:23], v[48:49], s[52:53], v[14:15] op_sel_hi:[1,0,1]
	v_pk_fma_f32 v[14:15], v[48:49], s[52:53], v[14:15] op_sel_hi:[1,0,1] neg_lo:[0,0,1] neg_hi:[0,0,1]
	v_pk_fma_f32 v[46:47], v[68:69], s[36:37], v[44:45] op_sel_hi:[1,0,1]
	v_mov_b32_e32 v21, v15
	v_mov_b32_e32 v15, v23
	v_pk_add_f32 v[10:11], v[14:15], v[10:11]
	v_pk_mul_f32 v[14:15], v[34:35], s[24:25] op_sel:[1,0] op_sel_hi:[0,0]
	v_pk_fma_f32 v[24:25], v[32:33], s[54:55], v[14:15] op_sel_hi:[1,0,1]
	v_pk_fma_f32 v[14:15], v[32:33], s[54:55], v[14:15] op_sel_hi:[1,0,1] neg_lo:[0,0,1] neg_hi:[0,0,1]
	v_pk_fma_f32 v[44:45], v[68:69], s[36:37], v[44:45] op_sel_hi:[1,0,1] neg_lo:[0,0,1] neg_hi:[0,0,1]
	v_mov_b32_e32 v23, v15
	v_mov_b32_e32 v15, v25
	v_pk_add_f32 v[10:11], v[14:15], v[10:11]
	v_pk_mul_f32 v[14:15], v[78:79], s[58:59] op_sel:[1,0] op_sel_hi:[0,0]
	v_pk_fma_f32 v[28:29], v[74:75], s[42:43], v[14:15] op_sel_hi:[1,0,1]
	v_pk_fma_f32 v[14:15], v[74:75], s[42:43], v[14:15] op_sel_hi:[1,0,1] neg_lo:[0,0,1] neg_hi:[0,0,1]
	v_accvgpr_write_b32 a127, v91
	v_mov_b32_e32 v25, v15
	v_mov_b32_e32 v15, v29
	v_pk_add_f32 v[10:11], v[14:15], v[10:11]
	v_pk_mul_f32 v[14:15], v[76:77], s[18:19] op_sel:[1,0] op_sel_hi:[0,0]
	v_pk_fma_f32 v[30:31], v[72:73], s[38:39], v[14:15] op_sel_hi:[1,0,1]
	v_pk_fma_f32 v[14:15], v[72:73], s[38:39], v[14:15] op_sel_hi:[1,0,1] neg_lo:[0,0,1] neg_hi:[0,0,1]
	v_accvgpr_write_b32 a126, v90
	;; [unrolled: 7-line block ×3, first 2 shown]
	v_mov_b32_e32 v31, v15
	v_mov_b32_e32 v15, v43
	v_pk_add_f32 v[14:15], v[190:191], v[14:15]
	v_mov_b32_e32 v43, v45
	v_mov_b32_e32 v45, v47
	v_pk_add_f32 v[14:15], v[44:45], v[14:15]
	v_pk_mul_f32 v[44:45], v[60:61], s[18:19] op_sel:[1,0] op_sel_hi:[0,0]
	v_pk_fma_f32 v[52:53], v[38:39], s[38:39], v[44:45] op_sel_hi:[1,0,1]
	v_pk_fma_f32 v[44:45], v[38:39], s[38:39], v[44:45] op_sel_hi:[1,0,1] neg_lo:[0,0,1] neg_hi:[0,0,1]
	v_accvgpr_write_b32 a124, v88
	v_mov_b32_e32 v47, v45
	v_mov_b32_e32 v45, v53
	v_pk_add_f32 v[14:15], v[44:45], v[14:15]
	v_pk_mul_f32 v[44:45], v[62:63], s[22:23] op_sel:[1,0] op_sel_hi:[0,0]
	v_pk_fma_f32 v[54:55], v[48:49], s[46:47], v[44:45] op_sel_hi:[1,0,1]
	v_pk_fma_f32 v[44:45], v[48:49], s[46:47], v[44:45] op_sel_hi:[1,0,1] neg_lo:[0,0,1] neg_hi:[0,0,1]
	v_mov_b32_e32 v18, v12
	v_mov_b32_e32 v53, v45
	v_mov_b32_e32 v45, v55
	v_pk_add_f32 v[14:15], v[44:45], v[14:15]
	v_pk_mul_f32 v[44:45], v[34:35], s[58:59] op_sel:[1,0] op_sel_hi:[0,0]
	v_pk_fma_f32 v[56:57], v[32:33], s[42:43], v[44:45] op_sel_hi:[1,0,1]
	v_pk_fma_f32 v[44:45], v[32:33], s[42:43], v[44:45] op_sel_hi:[1,0,1] neg_lo:[0,0,1] neg_hi:[0,0,1]
	v_mov_b32_e32 v12, v16
	;; [unrolled: 7-line block ×4, first 2 shown]
	v_mov_b32_e32 v59, v45
	v_mov_b32_e32 v45, v81
	v_pk_add_f32 v[14:15], v[44:45], v[14:15]
	v_pk_mul_f32 v[44:45], v[136:137], s[20:21] op_sel:[1,0] op_sel_hi:[0,0]
	v_pk_fma_f32 v[82:83], v[128:129], s[44:45], v[44:45] op_sel_hi:[1,0,1] neg_lo:[0,0,1] neg_hi:[0,0,1]
	v_pk_fma_f32 v[44:45], v[128:129], s[44:45], v[44:45] op_sel_hi:[1,0,1]
	v_mov_b32_e32 v84, v82
	v_mov_b32_e32 v85, v45
	v_pk_add_f32 v[88:89], v[84:85], v[10:11]
	v_pk_mul_f32 v[10:11], v[136:137], s[30:31] op_sel:[1,0] op_sel_hi:[0,0]
	v_pk_fma_f32 v[84:85], v[128:129], s[52:53], v[10:11] op_sel_hi:[1,0,1] neg_lo:[0,0,1] neg_hi:[0,0,1]
	v_pk_fma_f32 v[10:11], v[128:129], s[52:53], v[10:11] op_sel_hi:[1,0,1]
	v_mov_b32_e32 v86, v84
	v_mov_b32_e32 v87, v11
	v_pk_add_f32 v[90:91], v[86:87], v[14:15]
	v_pk_add_f32 v[14:15], v[190:191], v[18:19]
	v_mov_b32_e32 v22, v24
	v_mov_b32_e32 v24, v28
	;; [unrolled: 1-line block ×4, first 2 shown]
	v_pk_add_f32 v[12:13], v[12:13], v[14:15]
	v_mov_b32_e32 v42, v46
	v_pk_add_f32 v[14:15], v[190:191], v[30:31]
	v_pk_add_f32 v[12:13], v[16:17], v[12:13]
	;; [unrolled: 1-line block ×3, first 2 shown]
	v_mov_b32_e32 v46, v52
	v_pk_add_f32 v[12:13], v[20:21], v[12:13]
	v_pk_add_f32 v[14:15], v[46:47], v[14:15]
	v_mov_b32_e32 v52, v54
	v_pk_add_f32 v[12:13], v[22:23], v[12:13]
	v_pk_add_f32 v[14:15], v[52:53], v[14:15]
	;; [unrolled: 3-line block ×3, first 2 shown]
	v_mov_b32_e32 v56, v58
	v_pk_add_f32 v[12:13], v[28:29], v[12:13]
	v_mov_b32_e32 v45, v83
	v_pk_add_f32 v[14:15], v[56:57], v[14:15]
	;; [unrolled: 2-line block ×4, first 2 shown]
	v_pk_add_f32 v[10:11], v[10:11], v[14:15]
	v_pk_mul_f32 v[16:17], v[70:71], s[34:35] op_sel:[1,0] op_sel_hi:[0,0]
	v_accvgpr_write_b32 a147, v13
	v_accvgpr_write_b32 a146, v12
	;; [unrolled: 1-line block ×4, first 2 shown]
	v_pk_mul_f32 v[10:11], v[66:67], s[24:25] op_sel:[1,0] op_sel_hi:[0,0]
	v_pk_fma_f32 v[12:13], v[50:51], s[54:55], v[10:11] op_sel_hi:[1,0,1]
	v_pk_fma_f32 v[10:11], v[50:51], s[54:55], v[10:11] op_sel_hi:[1,0,1] neg_lo:[0,0,1] neg_hi:[0,0,1]
	v_mov_b32_e32 v14, v12
	v_mov_b32_e32 v15, v11
	v_pk_fma_f32 v[18:19], v[68:69], s[38:39], v[16:17] op_sel_hi:[1,0,1]
	v_pk_fma_f32 v[16:17], v[68:69], s[38:39], v[16:17] op_sel_hi:[1,0,1] neg_lo:[0,0,1] neg_hi:[0,0,1]
	v_pk_add_f32 v[14:15], v[190:191], v[14:15]
	v_mov_b32_e32 v20, v18
	v_mov_b32_e32 v21, v17
	v_pk_add_f32 v[14:15], v[20:21], v[14:15]
	v_pk_mul_f32 v[20:21], v[60:61], s[22:23] op_sel:[1,0] op_sel_hi:[0,0]
	v_pk_fma_f32 v[22:23], v[38:39], s[46:47], v[20:21] op_sel_hi:[1,0,1]
	v_pk_fma_f32 v[20:21], v[38:39], s[46:47], v[20:21] op_sel_hi:[1,0,1] neg_lo:[0,0,1] neg_hi:[0,0,1]
	v_mov_b32_e32 v24, v22
	v_mov_b32_e32 v25, v21
	v_pk_add_f32 v[14:15], v[24:25], v[14:15]
	v_pk_mul_f32 v[24:25], v[62:63], s[50:51] op_sel:[1,0] op_sel_hi:[0,0]
	v_pk_fma_f32 v[28:29], v[48:49], s[40:41], v[24:25] op_sel_hi:[1,0,1]
	v_pk_fma_f32 v[24:25], v[48:49], s[40:41], v[24:25] op_sel_hi:[1,0,1] neg_lo:[0,0,1] neg_hi:[0,0,1]
	;; [unrolled: 6-line block ×6, first 2 shown]
	v_pk_mul_f32 v[56:57], v[70:71], s[30:31] op_sel:[1,0] op_sel_hi:[0,0]
	v_pk_fma_f32 v[66:67], v[68:69], s[52:53], v[56:57] op_sel_hi:[1,0,1]
	v_pk_fma_f32 v[56:57], v[68:69], s[52:53], v[56:57] op_sel_hi:[1,0,1] neg_lo:[0,0,1] neg_hi:[0,0,1]
	v_mov_b32_e32 v68, v58
	v_mov_b32_e32 v69, v51
	v_pk_add_f32 v[68:69], v[190:191], v[68:69]
	v_mov_b32_e32 v70, v66
	v_mov_b32_e32 v71, v57
	v_pk_mul_f32 v[60:61], v[60:61], s[16:17] op_sel:[1,0] op_sel_hi:[0,0]
	v_pk_add_f32 v[68:69], v[70:71], v[68:69]
	v_pk_fma_f32 v[70:71], v[38:39], s[42:43], v[60:61] op_sel_hi:[1,0,1]
	v_pk_fma_f32 v[38:39], v[38:39], s[42:43], v[60:61] op_sel_hi:[1,0,1] neg_lo:[0,0,1] neg_hi:[0,0,1]
	v_mov_b32_e32 v60, v70
	v_mov_b32_e32 v61, v39
	v_pk_mul_f32 v[62:63], v[62:63], s[56:57] op_sel:[1,0] op_sel_hi:[0,0]
	v_pk_add_f32 v[60:61], v[60:61], v[68:69]
	v_pk_fma_f32 v[68:69], v[48:49], s[44:45], v[62:63] op_sel_hi:[1,0,1]
	v_pk_fma_f32 v[48:49], v[48:49], s[44:45], v[62:63] op_sel_hi:[1,0,1] neg_lo:[0,0,1] neg_hi:[0,0,1]
	;; [unrolled: 6-line block ×3, first 2 shown]
	v_mov_b32_e32 v11, v13
	v_mov_b32_e32 v34, v62
	;; [unrolled: 1-line block ×5, first 2 shown]
	v_pk_add_f32 v[10:11], v[190:191], v[10:11]
	v_pk_add_f32 v[34:35], v[34:35], v[60:61]
	v_pk_mul_f32 v[60:61], v[78:79], s[24:25] op_sel:[1,0] op_sel_hi:[0,0]
	v_mov_b32_e32 v57, v67
	v_pk_add_f32 v[50:51], v[190:191], v[50:51]
	v_pk_add_f32 v[10:11], v[16:17], v[10:11]
	v_mov_b32_e32 v21, v23
	v_pk_fma_f32 v[78:79], v[74:75], s[54:55], v[60:61] op_sel_hi:[1,0,1]
	v_pk_fma_f32 v[60:61], v[74:75], s[54:55], v[60:61] op_sel_hi:[1,0,1] neg_lo:[0,0,1] neg_hi:[0,0,1]
	v_pk_add_f32 v[50:51], v[56:57], v[50:51]
	v_mov_b32_e32 v39, v71
	v_pk_add_f32 v[10:11], v[20:21], v[10:11]
	v_mov_b32_e32 v25, v29
	v_mov_b32_e32 v74, v78
	;; [unrolled: 1-line block ×3, first 2 shown]
	v_pk_add_f32 v[38:39], v[38:39], v[50:51]
	v_mov_b32_e32 v49, v69
	v_pk_add_f32 v[10:11], v[24:25], v[10:11]
	v_mov_b32_e32 v31, v43
	v_pk_add_f32 v[34:35], v[74:75], v[34:35]
	v_pk_mul_f32 v[74:75], v[76:77], s[50:51] op_sel:[1,0] op_sel_hi:[0,0]
	v_pk_add_f32 v[38:39], v[48:49], v[38:39]
	v_mov_b32_e32 v33, v63
	v_pk_add_f32 v[10:11], v[30:31], v[10:11]
	v_mov_b32_e32 v45, v47
	v_pk_mul_f32 v[12:13], v[136:137], s[58:59] op_sel:[1,0] op_sel_hi:[0,0]
	v_pk_fma_f32 v[76:77], v[72:73], s[40:41], v[74:75] op_sel_hi:[1,0,1]
	v_pk_fma_f32 v[72:73], v[72:73], s[40:41], v[74:75] op_sel_hi:[1,0,1] neg_lo:[0,0,1] neg_hi:[0,0,1]
	v_pk_add_f32 v[32:33], v[32:33], v[38:39]
	v_mov_b32_e32 v61, v79
	v_pk_mul_f32 v[38:39], v[136:137], s[0:1] op_sel:[1,0] op_sel_hi:[0,0]
	v_pk_add_f32 v[10:11], v[44:45], v[10:11]
	v_mov_b32_e32 v53, v55
	v_pk_fma_f32 v[16:17], v[128:129], s[42:43], v[12:13] op_sel_hi:[1,0,1] neg_lo:[0,0,1] neg_hi:[0,0,1]
	v_pk_fma_f32 v[12:13], v[128:129], s[42:43], v[12:13] op_sel_hi:[1,0,1]
	v_mov_b32_e32 v75, v73
	v_pk_add_f32 v[32:33], v[60:61], v[32:33]
	v_mov_b32_e32 v73, v77
	v_pk_fma_f32 v[48:49], v[128:129], s[36:37], v[38:39] op_sel_hi:[1,0,1] neg_lo:[0,0,1] neg_hi:[0,0,1]
	v_pk_fma_f32 v[38:39], v[128:129], s[36:37], v[38:39] op_sel_hi:[1,0,1]
	v_pk_add_f32 v[10:11], v[52:53], v[10:11]
	v_mov_b32_e32 v18, v16
	v_mov_b32_e32 v19, v13
	v_pk_add_f32 v[32:33], v[72:73], v[32:33]
	v_mov_b32_e32 v50, v48
	v_mov_b32_e32 v51, v39
	v_pk_add_f32 v[22:23], v[18:19], v[10:11]
	v_pk_add_f32 v[20:21], v[50:51], v[32:33]
	v_mov_b32_e32 v74, v76
	v_accvgpr_write_b32 a151, v23
	v_accvgpr_write_b32 a150, v22
	;; [unrolled: 1-line block ×4, first 2 shown]
	global_load_dwordx4 v[18:21], v9, s[10:11] offset:64
	v_pk_add_f32 v[34:35], v[74:75], v[34:35]
	v_mov_b32_e32 v39, v49
	v_mov_b32_e32 v13, v17
	v_pk_add_f32 v[16:17], v[38:39], v[34:35]
	v_pk_add_f32 v[14:15], v[12:13], v[14:15]
	v_mov_b32_e32 v0, v153
	v_accvgpr_write_b32 a155, v17
	v_accvgpr_write_b32 a154, v16
	;; [unrolled: 1-line block ×4, first 2 shown]
	global_load_dwordx4 v[14:17], v9, s[10:11] offset:80
	v_pk_mul_f32 v[10:11], v[248:249], v[0:1] op_sel_hi:[1,0]
	v_mov_b32_e32 v0, v195
	v_pk_fma_f32 v[42:43], v[248:249], v[152:153], v[10:11] op_sel:[0,0,1] op_sel_hi:[1,1,0] neg_lo:[0,0,1] neg_hi:[0,0,1]
	v_pk_fma_f32 v[10:11], v[248:249], v[152:153], v[10:11] op_sel:[0,0,1] op_sel_hi:[1,0,0]
	v_pk_add_f32 v[12:13], v[194:195], v[94:95]
	v_mov_b32_e32 v43, v11
	v_pk_add_f32 v[12:13], v[12:13], v[238:239]
	v_accvgpr_write_b32 a5, v3
	v_pk_add_f32 v[12:13], v[12:13], v[234:235]
	s_mov_b32 s39, s18
	v_pk_add_f32 v[12:13], v[12:13], v[230:231]
	v_accvgpr_write_b32 a4, v2
	v_pk_add_f32 v[12:13], v[12:13], v[226:227]
	v_accvgpr_write_b32 a172, v186
	v_accvgpr_write_b32 a166, v152
	s_mov_b32 s19, s38
	s_mov_b32 s41, s14
	v_accvgpr_write_b32 a173, v187
	v_accvgpr_write_b32 a174, v188
	;; [unrolled: 1-line block ×5, first 2 shown]
	s_mov_b32 s15, s40
	s_mov_b32 s53, s12
	;; [unrolled: 1-line block ×4, first 2 shown]
	v_accvgpr_write_b32 a186, v252
	v_accvgpr_write_b32 a96, v114
	s_mov_b32 s17, s42
	s_mov_b32 s37, s0
	v_accvgpr_write_b32 a187, v253
	v_accvgpr_write_b32 a188, v254
	;; [unrolled: 1-line block ×7, first 2 shown]
	s_mov_b32 s1, s36
	s_mov_b32 s45, s20
	v_accvgpr_write_b32 a89, v107
	v_accvgpr_write_b32 a90, v108
	;; [unrolled: 1-line block ×4, first 2 shown]
	s_mov_b32 s21, s44
	s_mov_b32 s47, s22
	v_accvgpr_write_b32 a93, v111
	v_accvgpr_write_b32 a94, v112
	;; [unrolled: 1-line block ×3, first 2 shown]
	s_mov_b32 s23, s46
	s_mov_b32 s55, s24
	;; [unrolled: 1-line block ×3, first 2 shown]
	v_accvgpr_write_b32 a143, v91
	v_accvgpr_write_b32 a142, v90
	;; [unrolled: 1-line block ×4, first 2 shown]
	s_mov_b32 s27, s46
	s_mov_b32 s29, s36
	;; [unrolled: 1-line block ×5, first 2 shown]
	v_accvgpr_write_b32 a111, v101
	s_mov_b32 s51, s40
	v_accvgpr_write_b32 a110, v100
	v_accvgpr_write_b32 a109, v99
	;; [unrolled: 1-line block ×3, first 2 shown]
	s_mov_b32 s73, s56
	s_mov_b32 s57, s44
	v_accvgpr_write_b32 a100, v118
	s_waitcnt vmcnt(1)
	v_pk_mul_f32 v[10:11], v[244:245], v[18:19] op_sel:[0,1]
	v_accvgpr_write_b32 a212, v20
	v_pk_fma_f32 v[44:45], v[244:245], v[18:19], v[10:11] op_sel:[0,0,1] op_sel_hi:[1,1,0] neg_lo:[0,0,1] neg_hi:[0,0,1]
	v_pk_fma_f32 v[10:11], v[244:245], v[18:19], v[10:11] op_sel:[0,0,1] op_sel_hi:[1,0,0]
	v_accvgpr_write_b32 a184, v21
	v_mov_b32_e32 v45, v11
	v_pk_add_f32 v[10:11], v[0:1], v[92:93]
	v_mov_b32_e32 v0, v21
	v_pk_add_f32 v[10:11], v[10:11], v[236:237]
	v_accvgpr_write_b32 a211, v19
	v_pk_add_f32 v[10:11], v[10:11], v[232:233]
	s_waitcnt vmcnt(0)
	v_accvgpr_write_b32 a208, v16
	v_pk_add_f32 v[10:11], v[10:11], v[228:229]
	v_accvgpr_write_b32 a207, v15
	v_pk_add_f32 v[10:11], v[10:11], v[224:225]
	v_accvgpr_write_b32 a206, v14
	v_mov_b32_e32 v13, v10
	v_mov_b32_e32 v10, v222
	;; [unrolled: 1-line block ×3, first 2 shown]
	v_pk_add_f32 v[10:11], v[12:13], v[10:11]
	v_mov_b32_e32 v12, v6
	v_mov_b32_e32 v13, v4
	v_pk_add_f32 v[10:11], v[10:11], v[12:13]
	v_pk_mul_f32 v[12:13], v[218:219], v[0:1] op_sel_hi:[1,0]
	v_pk_add_f32 v[10:11], v[10:11], v[42:43]
	v_pk_fma_f32 v[30:31], v[218:219], v[20:21], v[12:13] op_sel:[0,0,1] op_sel_hi:[1,0,0] neg_lo:[0,0,1] neg_hi:[0,0,1]
	v_pk_fma_f32 v[46:47], v[218:219], v[20:21], v[12:13] op_sel:[0,0,1] op_sel_hi:[1,0,0]
	v_mov_b32_e32 v12, v30
	v_mov_b32_e32 v13, v47
	v_pk_add_f32 v[10:11], v[10:11], v[44:45]
	v_mov_b32_e32 v0, v17
	v_pk_add_f32 v[10:11], v[10:11], v[12:13]
	v_pk_mul_f32 v[12:13], v[214:215], v[14:15] op_sel:[0,1]
	v_accvgpr_write_b32 a210, v18
	v_pk_fma_f32 v[52:53], v[214:215], v[14:15], v[12:13] op_sel:[0,0,1] op_sel_hi:[1,0,0] neg_lo:[0,0,1] neg_hi:[0,0,1]
	v_pk_fma_f32 v[54:55], v[214:215], v[14:15], v[12:13] op_sel:[0,0,1] op_sel_hi:[1,0,0]
	v_mov_b32_e32 v12, v52
	v_mov_b32_e32 v13, v55
	v_pk_add_f32 v[10:11], v[10:11], v[12:13]
	v_pk_mul_f32 v[12:13], v[210:211], v[0:1] op_sel_hi:[1,0]
	v_accvgpr_write_b32 a178, v17
	v_pk_fma_f32 v[28:29], v[210:211], v[16:17], v[12:13] op_sel:[0,0,1] op_sel_hi:[1,0,0] neg_lo:[0,0,1] neg_hi:[0,0,1]
	v_pk_fma_f32 v[56:57], v[210:211], v[16:17], v[12:13] op_sel:[0,0,1] op_sel_hi:[1,0,0]
	v_mov_b32_e32 v12, v28
	v_mov_b32_e32 v13, v57
	v_pk_add_f32 v[10:11], v[10:11], v[12:13]
	global_load_dwordx4 v[12:15], v9, s[10:11] offset:96
	global_load_dwordx4 v[32:35], v9, s[10:11] offset:112
	v_pk_add_f32 v[78:79], v[226:227], v[28:29] neg_lo:[0,1] neg_hi:[0,1]
	v_pk_add_f32 v[254:255], v[222:223], v[52:53]
	v_pk_add_f32 v[52:53], v[222:223], v[52:53] neg_lo:[0,1] neg_hi:[0,1]
	global_load_dwordx4 a[222:225], v40, s[10:11] offset:112
	global_load_dwordx4 a[192:195], v40, s[10:11] offset:96
	;; [unrolled: 1-line block ×4, first 2 shown]
	v_mov_b32_e32 v255, v52
	s_waitcnt lgkmcnt(0)
	; wave barrier
	v_pk_mul_f32 v[220:221], v[254:255], s[38:39]
	v_accvgpr_write_b32 a101, v119
	v_accvgpr_write_b32 a102, v120
	v_accvgpr_write_b32 a103, v121
	s_mov_b32 s68, s42
	s_mov_b32 s69, s58
	;; [unrolled: 1-line block ×3, first 2 shown]
	v_accvgpr_write_b32 a116, v122
	v_accvgpr_write_b32 a117, v123
	v_accvgpr_write_b32 a118, v124
	v_accvgpr_write_b32 a119, v125
	v_accvgpr_write_b32 a120, v130
	v_accvgpr_write_b32 a121, v131
	v_accvgpr_write_b32 a122, v132
	v_accvgpr_write_b32 a123, v133
	v_accvgpr_write_b32 a132, v138
	v_accvgpr_write_b32 a133, v139
	v_accvgpr_write_b32 a134, v140
	v_accvgpr_write_b32 a135, v141
	v_accvgpr_write_b32 a176, v153
	v_accvgpr_write_b32 a168, v182
	v_accvgpr_write_b32 a169, v183
	v_accvgpr_write_b32 a170, v184
	v_accvgpr_write_b32 a171, v185
	scratch_store_dword off, v96, off       ; 4-byte Folded Spill
	v_accvgpr_write_b32 a84, v102
	v_accvgpr_write_b32 a85, v103
	;; [unrolled: 1-line block ×8, first 2 shown]
	v_mov_b64_e32 v[68:69], v[246:247]
	v_accvgpr_write_b32 a52, v64
	v_accvgpr_write_b32 a53, v65
	v_mov_b64_e32 v[64:65], v[250:251]
	s_waitcnt vmcnt(6)
	v_pk_mul_f32 v[8:9], v[206:207], v[12:13] op_sel:[0,1]
	s_nop 0
	v_pk_fma_f32 v[20:21], v[206:207], v[12:13], v[8:9] op_sel:[0,0,1] op_sel_hi:[1,0,0] neg_lo:[0,0,1] neg_hi:[0,0,1]
	v_pk_fma_f32 v[24:25], v[206:207], v[12:13], v[8:9] op_sel:[0,0,1] op_sel_hi:[1,0,0]
	v_mov_b32_e32 v8, v20
	v_mov_b32_e32 v9, v25
	;; [unrolled: 1-line block ×3, first 2 shown]
	v_pk_add_f32 v[8:9], v[10:11], v[8:9]
	v_pk_mul_f32 v[10:11], v[202:203], v[0:1] op_sel_hi:[1,0]
	v_accvgpr_write_b32 a216, v14
	v_pk_fma_f32 v[16:17], v[202:203], v[14:15], v[10:11] op_sel:[0,0,1] op_sel_hi:[1,0,0] neg_lo:[0,0,1] neg_hi:[0,0,1]
	v_pk_fma_f32 v[22:23], v[202:203], v[14:15], v[10:11] op_sel:[0,0,1] op_sel_hi:[1,0,0]
	v_mov_b32_e32 v10, v16
	v_mov_b32_e32 v11, v23
	v_pk_add_f32 v[8:9], v[8:9], v[10:11]
	s_waitcnt vmcnt(5)
	v_pk_mul_f32 v[10:11], v[198:199], v[32:33] op_sel:[0,1]
	v_accvgpr_write_b32 a215, v13
	v_accvgpr_write_b32 a214, v12
	v_pk_fma_f32 v[12:13], v[198:199], v[32:33], v[10:11] op_sel:[0,0,1] op_sel_hi:[1,0,0] neg_lo:[0,0,1] neg_hi:[0,0,1]
	v_pk_fma_f32 v[18:19], v[198:199], v[32:33], v[10:11] op_sel:[0,0,1] op_sel_hi:[1,0,0]
	v_mov_b32_e32 v10, v12
	v_mov_b32_e32 v11, v19
	;; [unrolled: 1-line block ×3, first 2 shown]
	v_pk_add_f32 v[8:9], v[8:9], v[10:11]
	v_pk_mul_f32 v[10:11], v[240:241], v[0:1] op_sel_hi:[1,0]
	v_accvgpr_write_b32 a180, v15
	v_pk_fma_f32 v[14:15], v[240:241], v[34:35], v[10:11] op_sel:[0,0,1] op_sel_hi:[1,0,0] neg_lo:[0,0,1] neg_hi:[0,0,1]
	v_pk_fma_f32 v[10:11], v[240:241], v[34:35], v[10:11] op_sel:[0,0,1] op_sel_hi:[1,0,0]
	v_accvgpr_write_b32 a220, v34
	v_accvgpr_write_b32 a219, v33
	;; [unrolled: 1-line block ×3, first 2 shown]
	v_mov_b32_e32 v32, v14
	v_mov_b32_e32 v33, v11
	v_pk_add_f32 v[58:59], v[8:9], v[32:33]
	v_pk_add_f32 v[8:9], v[94:95], v[14:15]
	v_accvgpr_write_b32 a182, v35
	v_mov_b32_e32 v9, v92
	v_pk_add_f32 v[32:33], v[8:9], v[10:11]
	v_mov_b32_e32 v9, v236
	v_pk_add_f32 v[34:35], v[8:9], v[18:19]
	v_mov_b32_e32 v9, v232
	v_mov_b32_e32 v0, v11
	v_pk_add_f32 v[38:39], v[8:9], v[22:23]
	v_mov_b32_e32 v9, v228
	v_pk_add_f32 v[62:63], v[94:95], v[14:15] neg_lo:[0,1] neg_hi:[0,1]
	v_pk_add_f32 v[14:15], v[92:93], v[0:1] neg_lo:[0,1] neg_hi:[0,1]
	v_mov_b32_e32 v0, v19
	v_pk_add_f32 v[48:49], v[8:9], v[24:25]
	v_mov_b32_e32 v9, v224
	v_pk_add_f32 v[18:19], v[236:237], v[0:1] neg_lo:[0,1] neg_hi:[0,1]
	v_mov_b32_e32 v0, v23
	v_pk_add_f32 v[50:51], v[8:9], v[56:57]
	v_mov_b32_e32 v9, v26
	;; [unrolled: 4-line block ×3, first 2 shown]
	v_pk_add_f32 v[10:11], v[238:239], v[12:13]
	v_pk_add_f32 v[66:67], v[238:239], v[12:13] neg_lo:[0,1] neg_hi:[0,1]
	v_pk_add_f32 v[24:25], v[228:229], v[0:1] neg_lo:[0,1] neg_hi:[0,1]
	v_mov_b32_e32 v0, v57
	v_pk_mul_f32 v[2:3], v[8:9], s[38:39]
	v_pk_add_f32 v[12:13], v[234:235], v[16:17]
	v_pk_add_f32 v[70:71], v[234:235], v[16:17] neg_lo:[0,1] neg_hi:[0,1]
	v_pk_add_f32 v[16:17], v[230:231], v[20:21]
	v_pk_add_f32 v[74:75], v[230:231], v[20:21] neg_lo:[0,1] neg_hi:[0,1]
	;; [unrolled: 2-line block ×3, first 2 shown]
	v_mov_b32_e32 v0, v55
	v_mov_b32_e32 v11, v66
	;; [unrolled: 1-line block ×3, first 2 shown]
	v_accvgpr_write_b32 a81, v3
	v_pk_add_f32 v[188:189], v[26:27], v[0:1] neg_lo:[0,1] neg_hi:[0,1]
	v_pk_add_f32 v[26:27], v[6:7], v[30:31]
	v_pk_add_f32 v[54:55], v[6:7], v[30:31] neg_lo:[0,1] neg_hi:[0,1]
	v_pk_add_f32 v[30:31], v[42:43], v[44:45]
	v_pk_add_f32 v[42:43], v[42:43], v[44:45] neg_lo:[0,1] neg_hi:[0,1]
	v_pk_fma_f32 v[44:45], v[14:15], s[18:19], v[2:3] neg_lo:[1,0,0] neg_hi:[1,0,0]
	v_pk_fma_f32 v[150:151], v[32:33], s[18:19], v[2:3]
	v_accvgpr_write_b32 a80, v2
	v_pk_mul_f32 v[2:3], v[10:11], s[40:41]
	v_mov_b32_e32 v7, v4
	v_mov_b32_e32 v34, v18
	v_accvgpr_write_b32 a83, v3
	v_mov_b32_e32 v13, v70
	v_pk_add_f32 v[6:7], v[6:7], v[46:47]
	v_mov_b32_e32 v0, v47
	v_mov_b32_e32 v45, v151
	v_pk_fma_f32 v[46:47], v[18:19], s[14:15], v[2:3] neg_lo:[1,0,0] neg_hi:[1,0,0]
	v_pk_fma_f32 v[134:135], v[34:35], s[14:15], v[2:3]
	v_accvgpr_write_b32 a82, v2
	v_pk_mul_f32 v[2:3], v[12:13], s[52:53]
	v_pk_add_f32 v[44:45], v[194:195], v[44:45]
	v_mov_b32_e32 v47, v135
	v_mov_b32_e32 v38, v22
	v_accvgpr_write_b32 a239, v3
	v_mov_b32_e32 v17, v74
	v_pk_add_f32 v[44:45], v[46:47], v[44:45]
	v_pk_fma_f32 v[46:47], v[22:23], s[12:13], v[2:3] neg_lo:[1,0,0] neg_hi:[1,0,0]
	v_pk_fma_f32 v[126:127], v[38:39], s[12:13], v[2:3]
	v_accvgpr_write_b32 a238, v2
	v_pk_mul_f32 v[2:3], v[16:17], s[42:43]
	v_mov_b32_e32 v47, v127
	v_mov_b32_e32 v48, v24
	v_accvgpr_write_b32 a241, v3
	v_mov_b32_e32 v21, v78
	v_pk_add_f32 v[44:45], v[46:47], v[44:45]
	v_pk_fma_f32 v[46:47], v[24:25], s[16:17], v[2:3] neg_lo:[1,0,0] neg_hi:[1,0,0]
	v_pk_fma_f32 v[116:117], v[48:49], s[16:17], v[2:3]
	v_accvgpr_write_b32 a240, v2
	v_pk_mul_f32 v[2:3], v[20:21], s[36:37]
	v_mov_b32_e32 v47, v117
	v_mov_b32_e32 v50, v28
	v_accvgpr_write_b32 a243, v3
	v_pk_add_f32 v[44:45], v[46:47], v[44:45]
	v_pk_fma_f32 v[46:47], v[28:29], s[0:1], v[2:3] neg_lo:[1,0,0] neg_hi:[1,0,0]
	v_pk_fma_f32 v[108:109], v[50:51], s[0:1], v[2:3]
	v_accvgpr_write_b32 a242, v2
	v_pk_mul_f32 v[2:3], v[254:255], s[44:45]
	v_mov_b32_e32 v47, v109
	v_mov_b32_e32 v60, v188
	v_accvgpr_write_b32 a245, v3
	v_mov_b32_e32 v27, v54
	v_pk_add_f32 v[208:209], v[4:5], v[0:1] neg_lo:[0,1] neg_hi:[0,1]
	v_pk_add_f32 v[44:45], v[46:47], v[44:45]
	v_pk_fma_f32 v[46:47], v[188:189], s[20:21], v[2:3] neg_lo:[1,0,0] neg_hi:[1,0,0]
	v_pk_fma_f32 v[112:113], v[60:61], s[20:21], v[2:3]
	v_accvgpr_write_b32 a244, v2
	v_pk_mul_f32 v[2:3], v[26:27], s[46:47]
	v_mov_b32_e32 v47, v113
	v_mov_b32_e32 v6, v208
	v_accvgpr_write_b32 a247, v3
	v_mov_b32_e32 v223, v31
	v_mov_b32_e32 v31, v42
	v_pk_add_f32 v[44:45], v[46:47], v[44:45]
	v_pk_fma_f32 v[46:47], v[208:209], s[22:23], v[2:3] neg_lo:[1,0,0] neg_hi:[1,0,0]
	v_pk_fma_f32 v[252:253], v[6:7], s[22:23], v[2:3]
	v_accvgpr_write_b32 a246, v2
	v_pk_mul_f32 v[2:3], v[30:31], s[54:55]
	v_mov_b32_e32 v222, v43
	v_accvgpr_write_b32 a249, v3
	v_pk_fma_f32 v[42:43], v[222:223], s[24:25], v[2:3] neg_lo:[1,0,0] neg_hi:[1,0,0]
	v_pk_fma_f32 v[224:225], v[222:223], s[24:25], v[2:3]
	v_accvgpr_write_b32 a248, v2
	v_mul_u32_u24_e32 v0, 0x77, v1
	v_pk_mul_f32 v[2:3], v[8:9], s[40:41]
	v_add_u32_sdwa v0, v0, v37 dst_sel:DWORD dst_unused:UNUSED_PAD src0_sel:DWORD src1_sel:BYTE_0
	v_accvgpr_write_b32 a129, v3
	v_lshl_add_u32 v88, v0, 3, v96
	v_pk_fma_f32 v[0:1], v[14:15], s[14:15], v[2:3] neg_lo:[1,0,0] neg_hi:[1,0,0]
	v_pk_fma_f32 v[228:229], v[32:33], s[14:15], v[2:3]
	v_accvgpr_write_b32 a128, v2
	v_pk_mul_f32 v[2:3], v[10:11], s[42:43]
	v_mov_b32_e32 v1, v229
	v_pk_fma_f32 v[36:37], v[18:19], s[16:17], v[2:3] neg_lo:[1,0,0] neg_hi:[1,0,0]
	v_pk_fma_f32 v[232:233], v[34:35], s[16:17], v[2:3]
	v_accvgpr_write_b32 a237, v3
	v_pk_add_f32 v[0:1], v[194:195], v[0:1]
	v_accvgpr_write_b32 a236, v2
	v_mov_b32_e32 v37, v233
	v_pk_mul_f32 v[2:3], v[12:13], s[44:45]
	v_pk_add_f32 v[0:1], v[36:37], v[0:1]
	v_pk_fma_f32 v[36:37], v[22:23], s[20:21], v[2:3] neg_lo:[1,0,0] neg_hi:[1,0,0]
	v_pk_fma_f32 v[236:237], v[38:39], s[20:21], v[2:3]
	v_accvgpr_write_b32 a253, v3
	v_accvgpr_write_b32 a252, v2
	v_mov_b32_e32 v37, v237
	v_pk_mul_f32 v[2:3], v[16:17], s[54:55]
	v_pk_add_f32 v[0:1], v[36:37], v[0:1]
	v_pk_fma_f32 v[36:37], v[24:25], s[24:25], v[2:3] neg_lo:[1,0,0] neg_hi:[1,0,0]
	v_pk_fma_f32 v[66:67], v[48:49], s[24:25], v[2:3]
	v_accvgpr_write_b32 a255, v3
	;; [unrolled: 7-line block ×4, first 2 shown]
	v_accvgpr_write_b32 a130, v2
	v_mov_b32_e32 v37, v73
	v_pk_mul_f32 v[2:3], v[26:27], s[60:61]
	v_pk_add_f32 v[0:1], v[36:37], v[0:1]
	v_pk_fma_f32 v[36:37], v[208:209], s[30:31], v[2:3] neg_lo:[1,0,0] neg_hi:[1,0,0]
	v_pk_fma_f32 v[76:77], v[6:7], s[30:31], v[2:3]
	v_mov_b32_e32 v47, v253
	v_mov_b32_e32 v37, v77
	v_pk_add_f32 v[36:37], v[36:37], v[0:1]
	v_pk_mul_f32 v[0:1], v[30:31], s[62:63]
	v_pk_add_f32 v[44:45], v[46:47], v[44:45]
	v_accvgpr_write_b32 a31, v1
	v_pk_fma_f32 v[40:41], v[222:223], s[34:35], v[0:1] neg_lo:[1,0,0] neg_hi:[1,0,0]
	v_pk_fma_f32 v[4:5], v[222:223], s[34:35], v[0:1]
	v_accvgpr_write_b32 a30, v0
	v_pk_mul_f32 v[0:1], v[8:9], s[52:53]
	v_mov_b32_e32 v43, v225
	v_mov_b32_e32 v41, v5
	v_accvgpr_write_b32 a29, v1
	v_pk_add_f32 v[42:43], v[42:43], v[44:45]
	v_pk_add_f32 v[36:37], v[40:41], v[36:37]
	v_pk_fma_f32 v[40:41], v[14:15], s[12:13], v[0:1] neg_lo:[1,0,0] neg_hi:[1,0,0]
	v_pk_fma_f32 v[210:211], v[32:33], s[12:13], v[0:1]
	v_accvgpr_write_b32 a28, v0
	v_pk_mul_f32 v[0:1], v[10:11], s[44:45]
	ds_write2_b64 v88, v[58:59], v[42:43] offset1:7
	v_mov_b32_e32 v41, v211
	v_pk_fma_f32 v[42:43], v[18:19], s[20:21], v[0:1] neg_lo:[1,0,0] neg_hi:[1,0,0]
	v_pk_fma_f32 v[214:215], v[34:35], s[20:21], v[0:1]
	v_pk_add_f32 v[40:41], v[194:195], v[40:41]
	v_mov_b32_e32 v43, v215
	v_pk_mul_f32 v[238:239], v[12:13], s[74:75]
	v_pk_add_f32 v[40:41], v[42:43], v[40:41]
	v_pk_fma_f32 v[42:43], v[22:23], s[48:49], v[238:239] neg_lo:[1,0,0] neg_hi:[1,0,0]
	v_pk_fma_f32 v[218:219], v[38:39], s[48:49], v[238:239]
	v_pk_mul_f32 v[234:235], v[16:17], s[66:67]
	v_mov_b32_e32 v43, v219
	v_pk_add_f32 v[40:41], v[42:43], v[40:41]
	v_pk_fma_f32 v[42:43], v[24:25], s[28:29], v[234:235] neg_lo:[1,0,0] neg_hi:[1,0,0]
	v_pk_fma_f32 v[190:191], v[48:49], s[28:29], v[234:235]
	v_pk_mul_f32 v[230:231], v[20:21], s[64:65]
	v_mov_b32_e32 v43, v191
	v_pk_add_f32 v[40:41], v[42:43], v[40:41]
	v_pk_fma_f32 v[42:43], v[28:29], s[50:51], v[230:231] neg_lo:[1,0,0] neg_hi:[1,0,0]
	v_pk_fma_f32 v[98:99], v[50:51], s[50:51], v[230:231]
	v_pk_fma_f32 v[142:143], v[60:61], s[18:19], v[220:221]
	v_mov_b32_e32 v43, v99
	v_pk_add_f32 v[40:41], v[42:43], v[40:41]
	v_pk_fma_f32 v[42:43], v[188:189], s[18:19], v[220:221] neg_lo:[1,0,0] neg_hi:[1,0,0]
	v_pk_mul_f32 v[216:217], v[26:27], s[42:43]
	v_mov_b32_e32 v43, v143
	v_pk_add_f32 v[40:41], v[42:43], v[40:41]
	v_pk_fma_f32 v[42:43], v[208:209], s[16:17], v[216:217] neg_lo:[1,0,0] neg_hi:[1,0,0]
	v_pk_fma_f32 v[156:157], v[6:7], s[16:17], v[216:217]
	v_pk_mul_f32 v[212:213], v[30:31], s[46:47]
	v_mov_b32_e32 v43, v157
	v_pk_add_f32 v[40:41], v[42:43], v[40:41]
	v_pk_fma_f32 v[42:43], v[222:223], s[22:23], v[212:213] neg_lo:[1,0,0] neg_hi:[1,0,0]
	v_pk_fma_f32 v[160:161], v[222:223], s[22:23], v[212:213]
	v_pk_mul_f32 v[166:167], v[8:9], s[42:43]
	v_mov_b32_e32 v43, v161
	v_pk_add_f32 v[40:41], v[42:43], v[40:41]
	ds_write2_b64 v88, v[36:37], v[40:41] offset0:14 offset1:21
	v_pk_fma_f32 v[36:37], v[14:15], s[16:17], v[166:167] neg_lo:[1,0,0] neg_hi:[1,0,0]
	v_pk_fma_f32 v[164:165], v[32:33], s[16:17], v[166:167]
	v_pk_mul_f32 v[162:163], v[10:11], s[54:55]
	v_mov_b32_e32 v37, v165
	v_pk_fma_f32 v[40:41], v[18:19], s[24:25], v[162:163] neg_lo:[1,0,0] neg_hi:[1,0,0]
	v_pk_fma_f32 v[192:193], v[34:35], s[24:25], v[162:163]
	v_pk_mul_f32 v[158:159], v[12:13], s[66:67]
	v_pk_add_f32 v[36:37], v[194:195], v[36:37]
	v_mov_b32_e32 v41, v193
	v_pk_fma_f32 v[42:43], v[22:23], s[28:29], v[158:159] neg_lo:[1,0,0] neg_hi:[1,0,0]
	v_pk_fma_f32 v[70:71], v[38:39], s[28:29], v[158:159]
	v_pk_mul_f32 v[154:155], v[16:17], s[62:63]
	v_pk_add_f32 v[40:41], v[40:41], v[36:37]
	v_mov_b32_e32 v43, v71
	v_pk_fma_f32 v[44:45], v[24:25], s[34:35], v[154:155] neg_lo:[1,0,0] neg_hi:[1,0,0]
	v_pk_fma_f32 v[198:199], v[48:49], s[34:35], v[154:155]
	v_pk_add_f32 v[42:43], v[42:43], v[40:41]
	v_mov_b32_e32 v45, v199
	v_pk_add_f32 v[46:47], v[44:45], v[42:43]
	v_pk_mul_f32 v[44:45], v[20:21], s[52:53]
	v_pk_mul_f32 v[40:41], v[10:11], s[70:71]
	v_pk_fma_f32 v[52:53], v[28:29], s[12:13], v[44:45] neg_lo:[1,0,0] neg_hi:[1,0,0]
	v_pk_fma_f32 v[42:43], v[50:51], s[12:13], v[44:45]
	v_pk_fma_f32 v[92:93], v[18:19], s[26:27], v[40:41] neg_lo:[1,0,0] neg_hi:[1,0,0]
	v_mov_b32_e32 v53, v43
	v_pk_add_f32 v[54:55], v[52:53], v[46:47]
	v_pk_mul_f32 v[52:53], v[254:255], s[46:47]
	v_pk_mul_f32 v[206:207], v[20:21], s[54:55]
	v_pk_fma_f32 v[56:57], v[188:189], s[22:23], v[52:53] neg_lo:[1,0,0] neg_hi:[1,0,0]
	v_pk_fma_f32 v[46:47], v[60:61], s[22:23], v[52:53]
	v_mov_b64_e32 v[74:75], v[204:205]
	v_mov_b32_e32 v57, v47
	v_pk_add_f32 v[58:59], v[56:57], v[54:55]
	v_pk_mul_f32 v[56:57], v[26:27], s[72:73]
	v_pk_fma_f32 v[204:205], v[50:51], s[24:25], v[206:207]
	v_pk_fma_f32 v[80:81], v[208:209], s[56:57], v[56:57] neg_lo:[1,0,0] neg_hi:[1,0,0]
	v_pk_fma_f32 v[54:55], v[6:7], s[56:57], v[56:57]
	v_pk_mul_f32 v[202:203], v[254:255], s[68:69]
	v_mov_b32_e32 v81, v55
	v_pk_add_f32 v[82:83], v[80:81], v[58:59]
	v_pk_mul_f32 v[80:81], v[30:31], s[64:65]
	v_mov_b64_e32 v[226:227], v[200:201]
	v_pk_fma_f32 v[84:85], v[222:223], s[50:51], v[80:81] neg_lo:[1,0,0] neg_hi:[1,0,0]
	v_pk_fma_f32 v[58:59], v[222:223], s[50:51], v[80:81]
	v_pk_fma_f32 v[200:201], v[60:61], s[58:59], v[202:203]
	v_mov_b32_e32 v85, v59
	v_pk_add_f32 v[120:121], v[84:85], v[82:83]
	v_pk_mul_f32 v[84:85], v[8:9], s[36:37]
	v_pk_mul_f32 v[36:37], v[10:11], s[66:67]
	v_pk_fma_f32 v[86:87], v[14:15], s[0:1], v[84:85] neg_lo:[1,0,0] neg_hi:[1,0,0]
	v_pk_fma_f32 v[82:83], v[32:33], s[0:1], v[84:85]
	v_pk_fma_f32 v[144:145], v[18:19], s[28:29], v[36:37] neg_lo:[1,0,0] neg_hi:[1,0,0]
	v_mov_b32_e32 v87, v83
	v_pk_add_f32 v[90:91], v[194:195], v[86:87]
	v_pk_fma_f32 v[86:87], v[34:35], s[26:27], v[40:41]
	v_pk_fma_f32 v[132:133], v[34:35], s[28:29], v[36:37]
	v_mov_b32_e32 v93, v87
	v_pk_add_f32 v[94:95], v[92:93], v[90:91]
	v_pk_mul_f32 v[92:93], v[12:13], s[64:65]
	v_mov_b32_e32 v145, v133
	v_pk_fma_f32 v[106:107], v[22:23], s[50:51], v[92:93] neg_lo:[1,0,0] neg_hi:[1,0,0]
	v_pk_fma_f32 v[90:91], v[38:39], s[50:51], v[92:93]
	v_pk_mul_f32 v[138:139], v[20:21], s[68:69]
	v_mov_b32_e32 v107, v91
	v_pk_add_f32 v[110:111], v[106:107], v[94:95]
	v_pk_mul_f32 v[106:107], v[16:17], s[52:53]
	v_pk_fma_f32 v[168:169], v[50:51], s[58:59], v[138:139]
	v_pk_fma_f32 v[114:115], v[24:25], s[12:13], v[106:107] neg_lo:[1,0,0] neg_hi:[1,0,0]
	v_pk_fma_f32 v[94:95], v[48:49], s[12:13], v[106:107]
	v_accvgpr_write_b32 a163, v3
	v_mov_b32_e32 v115, v95
	v_pk_add_f32 v[110:111], v[114:115], v[110:111]
	v_pk_fma_f32 v[114:115], v[28:29], s[24:25], v[206:207] neg_lo:[1,0,0] neg_hi:[1,0,0]
	v_accvgpr_write_b32 a49, v1
	v_mov_b32_e32 v115, v205
	v_pk_add_f32 v[110:111], v[114:115], v[110:111]
	v_pk_fma_f32 v[114:115], v[188:189], s[58:59], v[202:203] neg_lo:[1,0,0] neg_hi:[1,0,0]
	v_accvgpr_write_b32 a162, v2
	v_mov_b32_e32 v115, v201
	v_pk_add_f32 v[118:119], v[114:115], v[110:111]
	v_pk_mul_f32 v[114:115], v[26:27], s[38:39]
	v_accvgpr_write_b32 a48, v0
	v_pk_fma_f32 v[124:125], v[208:209], s[18:19], v[114:115] neg_lo:[1,0,0] neg_hi:[1,0,0]
	v_pk_fma_f32 v[110:111], v[6:7], s[18:19], v[114:115]
	v_pk_mul_f32 v[2:3], v[10:11], s[60:61]
	v_mov_b32_e32 v125, v111
	v_pk_add_f32 v[128:129], v[124:125], v[118:119]
	v_pk_mul_f32 v[124:125], v[30:31], s[44:45]
	v_pk_fma_f32 v[96:97], v[18:19], s[30:31], v[2:3] neg_lo:[1,0,0] neg_hi:[1,0,0]
	v_pk_fma_f32 v[130:131], v[222:223], s[20:21], v[124:125] neg_lo:[1,0,0] neg_hi:[1,0,0]
	v_pk_fma_f32 v[118:119], v[222:223], s[20:21], v[124:125]
	v_pk_fma_f32 v[100:101], v[34:35], s[30:31], v[2:3]
	v_mov_b32_e32 v131, v119
	v_pk_add_f32 v[128:129], v[130:131], v[128:129]
	ds_write2_b64 v88, v[120:121], v[128:129] offset0:28 offset1:35
	v_pk_mul_f32 v[120:121], v[8:9], s[44:45]
	v_mov_b32_e32 v97, v101
	v_pk_fma_f32 v[128:129], v[14:15], s[20:21], v[120:121] neg_lo:[1,0,0] neg_hi:[1,0,0]
	v_pk_fma_f32 v[130:131], v[32:33], s[20:21], v[120:121]
	v_mov_b64_e32 v[62:63], v[242:243]
	v_mov_b32_e32 v129, v131
	v_pk_add_f32 v[128:129], v[194:195], v[128:129]
	v_pk_mul_f32 v[10:11], v[10:11], s[62:63]
	v_pk_add_f32 v[128:129], v[144:145], v[128:129]
	v_pk_mul_f32 v[144:145], v[12:13], s[38:39]
	v_pk_fma_f32 v[18:19], v[18:19], s[34:35], v[10:11] neg_lo:[1,0,0] neg_hi:[1,0,0]
	v_pk_fma_f32 v[140:141], v[22:23], s[18:19], v[144:145] neg_lo:[1,0,0] neg_hi:[1,0,0]
	v_pk_fma_f32 v[122:123], v[38:39], s[18:19], v[144:145]
	v_pk_fma_f32 v[2:3], v[34:35], s[30:31], v[2:3] neg_lo:[0,0,1] neg_hi:[0,0,1]
	v_mov_b32_e32 v141, v123
	v_pk_add_f32 v[128:129], v[140:141], v[128:129]
	v_pk_mul_f32 v[140:141], v[16:17], s[46:47]
	v_mov_b32_e32 v101, v3
	v_pk_fma_f32 v[152:153], v[24:25], s[22:23], v[140:141] neg_lo:[1,0,0] neg_hi:[1,0,0]
	v_pk_fma_f32 v[136:137], v[48:49], s[22:23], v[140:141]
	v_accvgpr_write_b32 a167, v88
	v_mov_b32_e32 v153, v137
	v_pk_add_f32 v[128:129], v[152:153], v[128:129]
	v_pk_fma_f32 v[152:153], v[28:29], s[58:59], v[138:139] neg_lo:[1,0,0] neg_hi:[1,0,0]
	s_nop 0
	v_mov_b32_e32 v153, v169
	v_pk_add_f32 v[128:129], v[152:153], v[128:129]
	v_pk_mul_f32 v[152:153], v[254:255], s[40:41]
	s_nop 0
	v_pk_fma_f32 v[170:171], v[188:189], s[14:15], v[152:153] neg_lo:[1,0,0] neg_hi:[1,0,0]
	v_pk_fma_f32 v[172:173], v[60:61], s[14:15], v[152:153]
	s_nop 0
	v_mov_b32_e32 v171, v173
	v_pk_add_f32 v[128:129], v[170:171], v[128:129]
	v_pk_mul_f32 v[170:171], v[26:27], s[54:55]
	s_nop 0
	v_pk_fma_f32 v[174:175], v[208:209], s[24:25], v[170:171] neg_lo:[1,0,0] neg_hi:[1,0,0]
	v_pk_fma_f32 v[176:177], v[6:7], s[24:25], v[170:171]
	;; [unrolled: 7-line block ×3, first 2 shown]
	s_nop 0
	v_mov_b32_e32 v179, v181
	v_pk_add_f32 v[128:129], v[178:179], v[128:129]
	v_pk_mul_f32 v[178:179], v[8:9], s[46:47]
	v_pk_mul_f32 v[8:9], v[8:9], s[54:55]
	v_pk_fma_f32 v[182:183], v[14:15], s[22:23], v[178:179] neg_lo:[1,0,0] neg_hi:[1,0,0]
	v_pk_fma_f32 v[0:1], v[32:33], s[22:23], v[178:179]
	v_pk_fma_f32 v[14:15], v[14:15], s[24:25], v[8:9] neg_lo:[1,0,0] neg_hi:[1,0,0]
	v_mov_b32_e32 v183, v1
	v_pk_add_f32 v[182:183], v[194:195], v[182:183]
	s_nop 0
	v_pk_add_f32 v[96:97], v[96:97], v[182:183]
	v_pk_mul_f32 v[182:183], v[12:13], s[42:43]
	v_pk_mul_f32 v[12:13], v[12:13], s[46:47]
	v_pk_fma_f32 v[102:103], v[22:23], s[16:17], v[182:183] neg_lo:[1,0,0] neg_hi:[1,0,0]
	v_pk_fma_f32 v[104:105], v[38:39], s[16:17], v[182:183]
	v_pk_fma_f32 v[2:3], v[38:39], s[16:17], v[182:183] neg_lo:[0,0,1] neg_hi:[0,0,1]
	v_mov_b32_e32 v103, v105
	v_pk_add_f32 v[96:97], v[102:103], v[96:97]
	v_pk_mul_f32 v[102:103], v[16:17], s[72:73]
	v_pk_mul_f32 v[16:17], v[16:17], s[64:65]
	v_pk_fma_f32 v[146:147], v[24:25], s[56:57], v[102:103] neg_lo:[1,0,0] neg_hi:[1,0,0]
	v_pk_fma_f32 v[240:241], v[48:49], s[56:57], v[102:103]
	v_mov_b32_e32 v105, v3
	v_mov_b32_e32 v147, v241
	v_pk_add_f32 v[96:97], v[146:147], v[96:97]
	v_pk_mul_f32 v[146:147], v[20:21], s[38:39]
	v_pk_fma_f32 v[2:3], v[48:49], s[56:57], v[102:103] neg_lo:[0,0,1] neg_hi:[0,0,1]
	v_pk_fma_f32 v[242:243], v[28:29], s[18:19], v[146:147] neg_lo:[1,0,0] neg_hi:[1,0,0]
	v_pk_fma_f32 v[244:245], v[50:51], s[18:19], v[146:147]
	v_mov_b32_e32 v241, v3
	v_mov_b32_e32 v243, v245
	v_pk_add_f32 v[96:97], v[242:243], v[96:97]
	v_pk_mul_f32 v[242:243], v[254:255], s[54:55]
	v_pk_fma_f32 v[2:3], v[50:51], s[18:19], v[146:147] neg_lo:[0,0,1] neg_hi:[0,0,1]
	v_pk_fma_f32 v[246:247], v[188:189], s[24:25], v[242:243] neg_lo:[1,0,0] neg_hi:[1,0,0]
	v_pk_fma_f32 v[248:249], v[60:61], s[24:25], v[242:243]
	v_mov_b32_e32 v245, v3
	v_mov_b32_e32 v247, v249
	v_pk_add_f32 v[96:97], v[246:247], v[96:97]
	v_pk_mul_f32 v[246:247], v[26:27], s[64:65]
	v_pk_mul_f32 v[26:27], v[26:27], s[36:37]
	v_pk_fma_f32 v[250:251], v[208:209], s[50:51], v[246:247] neg_lo:[1,0,0] neg_hi:[1,0,0]
	v_pk_fma_f32 v[148:149], v[6:7], s[50:51], v[246:247]
	v_pk_fma_f32 v[2:3], v[60:61], s[24:25], v[242:243] neg_lo:[0,0,1] neg_hi:[0,0,1]
	v_mov_b32_e32 v251, v149
	v_pk_add_f32 v[96:97], v[250:251], v[96:97]
	v_pk_mul_f32 v[250:251], v[30:31], s[36:37]
	v_pk_mul_f32 v[30:31], v[30:31], s[68:69]
	v_pk_fma_f32 v[184:185], v[222:223], s[0:1], v[250:251] neg_lo:[1,0,0] neg_hi:[1,0,0]
	v_pk_fma_f32 v[186:187], v[222:223], s[0:1], v[250:251]
	v_mov_b32_e32 v249, v3
	v_mov_b32_e32 v185, v187
	v_pk_add_f32 v[96:97], v[184:185], v[96:97]
	ds_write2_b64 v88, v[128:129], v[96:97] offset0:42 offset1:49
	v_pk_fma_f32 v[96:97], v[32:33], s[24:25], v[8:9]
	v_pk_fma_f32 v[128:129], v[34:35], s[34:35], v[10:11]
	v_mov_b32_e32 v15, v97
	v_pk_add_f32 v[14:15], v[194:195], v[14:15]
	v_mov_b32_e32 v19, v129
	v_pk_add_f32 v[14:15], v[18:19], v[14:15]
	v_pk_fma_f32 v[18:19], v[22:23], s[22:23], v[12:13] neg_lo:[1,0,0] neg_hi:[1,0,0]
	v_pk_fma_f32 v[22:23], v[38:39], s[22:23], v[12:13]
	v_pk_fma_f32 v[8:9], v[32:33], s[24:25], v[8:9] neg_lo:[0,0,1] neg_hi:[0,0,1]
	v_mov_b32_e32 v19, v23
	v_pk_add_f32 v[14:15], v[18:19], v[14:15]
	v_pk_fma_f32 v[18:19], v[24:25], s[50:51], v[16:17] neg_lo:[1,0,0] neg_hi:[1,0,0]
	v_pk_fma_f32 v[24:25], v[48:49], s[50:51], v[16:17]
	v_mov_b32_e32 v97, v9
	v_mov_b32_e32 v19, v25
	v_pk_add_f32 v[14:15], v[18:19], v[14:15]
	v_pk_mul_f32 v[18:19], v[20:21], s[44:45]
	v_pk_fma_f32 v[8:9], v[34:35], s[34:35], v[10:11] neg_lo:[0,0,1] neg_hi:[0,0,1]
	v_pk_fma_f32 v[20:21], v[28:29], s[20:21], v[18:19] neg_lo:[1,0,0] neg_hi:[1,0,0]
	v_pk_fma_f32 v[28:29], v[50:51], s[20:21], v[18:19]
	v_mov_b32_e32 v129, v9
	v_mov_b32_e32 v21, v29
	v_pk_add_f32 v[14:15], v[20:21], v[14:15]
	v_pk_mul_f32 v[20:21], v[254:255], s[60:61]
	v_pk_add_f32 v[8:9], v[194:195], v[96:97]
	v_pk_fma_f32 v[10:11], v[38:39], s[22:23], v[12:13] neg_lo:[0,0,1] neg_hi:[0,0,1]
	v_pk_fma_f32 v[184:185], v[188:189], s[30:31], v[20:21] neg_lo:[1,0,0] neg_hi:[1,0,0]
	v_pk_fma_f32 v[188:189], v[60:61], s[30:31], v[20:21]
	v_pk_add_f32 v[8:9], v[128:129], v[8:9]
	v_mov_b32_e32 v23, v11
	v_pk_fma_f32 v[10:11], v[48:49], s[50:51], v[16:17] neg_lo:[0,0,1] neg_hi:[0,0,1]
	v_mov_b32_e32 v185, v189
	v_pk_add_f32 v[8:9], v[22:23], v[8:9]
	v_mov_b32_e32 v25, v11
	v_pk_fma_f32 v[10:11], v[50:51], s[20:21], v[18:19] neg_lo:[0,0,1] neg_hi:[0,0,1]
	v_pk_add_f32 v[14:15], v[184:185], v[14:15]
	v_pk_fma_f32 v[184:185], v[208:209], s[0:1], v[26:27] neg_lo:[1,0,0] neg_hi:[1,0,0]
	v_pk_fma_f32 v[208:209], v[6:7], s[0:1], v[26:27]
	v_pk_add_f32 v[8:9], v[24:25], v[8:9]
	v_mov_b32_e32 v29, v11
	v_pk_fma_f32 v[10:11], v[60:61], s[30:31], v[20:21] neg_lo:[0,0,1] neg_hi:[0,0,1]
	v_mov_b32_e32 v185, v209
	v_pk_add_f32 v[8:9], v[28:29], v[8:9]
	v_mov_b32_e32 v189, v11
	v_pk_fma_f32 v[10:11], v[6:7], s[0:1], v[26:27] neg_lo:[0,0,1] neg_hi:[0,0,1]
	v_pk_add_f32 v[14:15], v[184:185], v[14:15]
	;; [unrolled: 10-line block ×3, first 2 shown]
	v_pk_add_f32 v[8:9], v[254:255], v[8:9]
	v_mov_b32_e32 v149, v3
	v_pk_fma_f32 v[2:3], v[222:223], s[0:1], v[250:251] neg_lo:[0,0,1] neg_hi:[0,0,1]
	ds_write2_b64 v88, v[14:15], v[8:9] offset0:56 offset1:63
	v_pk_fma_f32 v[8:9], v[32:33], s[22:23], v[178:179] neg_lo:[0,0,1] neg_hi:[0,0,1]
	v_mov_b32_e32 v187, v3
	v_pk_fma_f32 v[2:3], v[32:33], s[20:21], v[120:121] neg_lo:[0,0,1] neg_hi:[0,0,1]
	v_mov_b32_e32 v1, v9
	v_mov_b32_e32 v131, v3
	v_pk_fma_f32 v[2:3], v[34:35], s[28:29], v[36:37] neg_lo:[0,0,1] neg_hi:[0,0,1]
	v_pk_add_f32 v[0:1], v[194:195], v[0:1]
	v_mov_b32_e32 v133, v3
	v_pk_add_f32 v[2:3], v[194:195], v[130:131]
	v_pk_fma_f32 v[8:9], v[38:39], s[18:19], v[144:145] neg_lo:[0,0,1] neg_hi:[0,0,1]
	v_pk_add_f32 v[0:1], v[100:101], v[0:1]
	v_pk_add_f32 v[2:3], v[132:133], v[2:3]
	v_mov_b32_e32 v123, v9
	v_pk_fma_f32 v[8:9], v[48:49], s[22:23], v[140:141] neg_lo:[0,0,1] neg_hi:[0,0,1]
	v_pk_add_f32 v[0:1], v[104:105], v[0:1]
	v_pk_add_f32 v[2:3], v[122:123], v[2:3]
	v_mov_b32_e32 v137, v9
	;; [unrolled: 4-line block ×6, first 2 shown]
	v_pk_add_f32 v[0:1], v[186:187], v[0:1]
	v_pk_add_f32 v[2:3], v[180:181], v[2:3]
	ds_write2_b64 v88, v[0:1], v[2:3] offset0:70 offset1:77
	v_pk_fma_f32 v[2:3], v[38:39], s[50:51], v[92:93] neg_lo:[0,0,1] neg_hi:[0,0,1]
	v_pk_fma_f32 v[0:1], v[32:33], s[0:1], v[84:85] neg_lo:[0,0,1] neg_hi:[0,0,1]
	v_mov_b32_e32 v91, v3
	v_pk_fma_f32 v[2:3], v[48:49], s[12:13], v[106:107] neg_lo:[0,0,1] neg_hi:[0,0,1]
	v_mov_b32_e32 v83, v1
	v_mov_b32_e32 v95, v3
	v_pk_fma_f32 v[2:3], v[50:51], s[24:25], v[206:207] neg_lo:[0,0,1] neg_hi:[0,0,1]
	v_pk_fma_f32 v[0:1], v[34:35], s[26:27], v[40:41] neg_lo:[0,0,1] neg_hi:[0,0,1]
	v_mov_b32_e32 v205, v3
	v_pk_fma_f32 v[2:3], v[60:61], s[58:59], v[202:203] neg_lo:[0,0,1] neg_hi:[0,0,1]
	v_mov_b32_e32 v87, v1
	v_mov_b32_e32 v201, v3
	v_pk_fma_f32 v[2:3], v[6:7], s[18:19], v[114:115] neg_lo:[0,0,1] neg_hi:[0,0,1]
	v_pk_add_f32 v[0:1], v[194:195], v[82:83]
	v_mov_b32_e32 v111, v3
	v_pk_fma_f32 v[2:3], v[222:223], s[20:21], v[124:125] neg_lo:[0,0,1] neg_hi:[0,0,1]
	v_pk_fma_f32 v[8:9], v[38:39], s[28:29], v[158:159] neg_lo:[0,0,1] neg_hi:[0,0,1]
	v_mov_b32_e32 v119, v3
	v_pk_fma_f32 v[2:3], v[32:33], s[16:17], v[166:167] neg_lo:[0,0,1] neg_hi:[0,0,1]
	v_pk_add_f32 v[0:1], v[86:87], v[0:1]
	v_mov_b32_e32 v165, v3
	v_pk_fma_f32 v[2:3], v[34:35], s[24:25], v[162:163] neg_lo:[0,0,1] neg_hi:[0,0,1]
	v_mov_b32_e32 v71, v9
	v_mov_b32_e32 v193, v3
	v_pk_add_f32 v[2:3], v[194:195], v[164:165]
	v_pk_fma_f32 v[8:9], v[48:49], s[34:35], v[154:155] neg_lo:[0,0,1] neg_hi:[0,0,1]
	v_pk_add_f32 v[2:3], v[192:193], v[2:3]
	v_pk_add_f32 v[0:1], v[90:91], v[0:1]
	;; [unrolled: 1-line block ×3, first 2 shown]
	v_mov_b32_e32 v199, v9
	v_pk_fma_f32 v[8:9], v[50:51], s[12:13], v[44:45] neg_lo:[0,0,1] neg_hi:[0,0,1]
	v_pk_add_f32 v[0:1], v[94:95], v[0:1]
	v_pk_add_f32 v[2:3], v[198:199], v[2:3]
	v_mov_b32_e32 v43, v9
	v_pk_fma_f32 v[8:9], v[60:61], s[22:23], v[52:53] neg_lo:[0,0,1] neg_hi:[0,0,1]
	v_pk_add_f32 v[0:1], v[204:205], v[0:1]
	v_pk_add_f32 v[2:3], v[42:43], v[2:3]
	;; [unrolled: 4-line block ×4, first 2 shown]
	v_mov_b32_e32 v59, v9
	v_pk_add_f32 v[0:1], v[118:119], v[0:1]
	v_pk_add_f32 v[2:3], v[58:59], v[2:3]
	ds_write2_b64 v88, v[0:1], v[2:3] offset0:84 offset1:91
	v_pk_fma_f32 v[2:3], v[38:39], s[48:49], v[238:239] neg_lo:[0,0,1] neg_hi:[0,0,1]
	v_accvgpr_read_b32 v8, a252
	v_mov_b32_e32 v219, v3
	v_pk_fma_f32 v[2:3], v[48:49], s[28:29], v[234:235] neg_lo:[0,0,1] neg_hi:[0,0,1]
	v_accvgpr_read_b32 v9, a253
	v_mov_b32_e32 v191, v3
	v_pk_fma_f32 v[2:3], v[50:51], s[50:51], v[230:231] neg_lo:[0,0,1] neg_hi:[0,0,1]
	v_pk_fma_f32 v[8:9], v[38:39], s[20:21], v[8:9] neg_lo:[0,0,1] neg_hi:[0,0,1]
	v_mov_b32_e32 v99, v3
	v_pk_fma_f32 v[2:3], v[60:61], s[18:19], v[220:221] neg_lo:[0,0,1] neg_hi:[0,0,1]
	v_mov_b32_e32 v237, v9
	v_accvgpr_read_b32 v8, a254
	v_mov_b32_e32 v143, v3
	v_pk_fma_f32 v[2:3], v[6:7], s[16:17], v[216:217] neg_lo:[0,0,1] neg_hi:[0,0,1]
	v_accvgpr_read_b32 v9, a255
	v_mov_b32_e32 v157, v3
	v_pk_fma_f32 v[2:3], v[222:223], s[22:23], v[212:213] neg_lo:[0,0,1] neg_hi:[0,0,1]
	v_pk_fma_f32 v[8:9], v[48:49], s[24:25], v[8:9] neg_lo:[0,0,1] neg_hi:[0,0,1]
	v_accvgpr_read_b32 v0, a28
	v_mov_b32_e32 v161, v3
	v_accvgpr_read_b32 v2, a128
	v_mov_b32_e32 v67, v9
	v_accvgpr_read_b32 v8, a156
	v_accvgpr_read_b32 v1, a29
	;; [unrolled: 1-line block ×4, first 2 shown]
	v_pk_fma_f32 v[0:1], v[32:33], s[12:13], v[0:1] neg_lo:[0,0,1] neg_hi:[0,0,1]
	v_pk_fma_f32 v[2:3], v[32:33], s[14:15], v[2:3] neg_lo:[0,0,1] neg_hi:[0,0,1]
	;; [unrolled: 1-line block ×3, first 2 shown]
	v_mov_b32_e32 v211, v1
	v_accvgpr_read_b32 v0, a48
	v_mov_b32_e32 v229, v3
	v_accvgpr_read_b32 v2, a236
	;; [unrolled: 2-line block ×3, first 2 shown]
	v_accvgpr_read_b32 v1, a49
	v_accvgpr_read_b32 v3, a237
	;; [unrolled: 1-line block ×3, first 2 shown]
	v_pk_fma_f32 v[0:1], v[34:35], s[20:21], v[0:1] neg_lo:[0,0,1] neg_hi:[0,0,1]
	v_pk_fma_f32 v[2:3], v[34:35], s[16:17], v[2:3] neg_lo:[0,0,1] neg_hi:[0,0,1]
	;; [unrolled: 1-line block ×3, first 2 shown]
	v_mov_b32_e32 v215, v1
	v_pk_add_f32 v[0:1], v[194:195], v[210:211]
	v_mov_b32_e32 v233, v3
	v_pk_add_f32 v[2:3], v[194:195], v[228:229]
	v_mov_b32_e32 v73, v9
	v_accvgpr_read_b32 v8, a162
	v_pk_add_f32 v[0:1], v[214:215], v[0:1]
	v_pk_add_f32 v[2:3], v[232:233], v[2:3]
	v_accvgpr_read_b32 v9, a163
	v_pk_add_f32 v[0:1], v[218:219], v[0:1]
	v_pk_add_f32 v[2:3], v[236:237], v[2:3]
	v_pk_fma_f32 v[8:9], v[6:7], s[30:31], v[8:9] neg_lo:[0,0,1] neg_hi:[0,0,1]
	v_pk_add_f32 v[0:1], v[190:191], v[0:1]
	v_pk_add_f32 v[2:3], v[66:67], v[2:3]
	v_mov_b32_e32 v77, v9
	v_accvgpr_read_b32 v8, a30
	v_pk_add_f32 v[0:1], v[98:99], v[0:1]
	v_pk_add_f32 v[2:3], v[78:79], v[2:3]
	v_accvgpr_read_b32 v9, a31
	v_pk_add_f32 v[0:1], v[142:143], v[0:1]
	v_pk_add_f32 v[2:3], v[72:73], v[2:3]
	v_pk_fma_f32 v[8:9], v[222:223], s[34:35], v[8:9] neg_lo:[0,0,1] neg_hi:[0,0,1]
	v_pk_add_f32 v[0:1], v[156:157], v[0:1]
	v_pk_add_f32 v[2:3], v[76:77], v[2:3]
	v_mov_b32_e32 v5, v9
	v_pk_add_f32 v[0:1], v[160:161], v[0:1]
	v_pk_add_f32 v[2:3], v[4:5], v[2:3]
	ds_write2_b64 v88, v[0:1], v[2:3] offset0:98 offset1:105
	v_accvgpr_read_b32 v2, a186
	v_accvgpr_read_b32 v5, a189
	v_mov_b32_e32 v0, v5
	v_accvgpr_read_b32 v4, a188
	v_pk_mul_f32 v[0:1], v[64:65], v[0:1] op_sel_hi:[1,0]
	s_waitcnt vmcnt(1)
	v_accvgpr_read_b32 v16, a230
	v_pk_fma_f32 v[8:9], v[64:65], v[4:5], v[0:1] op_sel:[0,0,1] op_sel_hi:[1,1,0] neg_lo:[0,0,1] neg_hi:[0,0,1]
	v_pk_fma_f32 v[0:1], v[64:65], v[4:5], v[0:1] op_sel:[0,0,1] op_sel_hi:[1,0,0]
	v_accvgpr_read_b32 v19, a233
	v_accvgpr_read_b32 v14, a234
	;; [unrolled: 1-line block ×3, first 2 shown]
	v_accvgpr_write_b32 a130, v4
	v_accvgpr_read_b32 v18, a232
	v_mov_b32_e32 v0, v19
	v_accvgpr_read_b32 v15, a235
	v_accvgpr_write_b32 a186, v5
	v_accvgpr_write_b32 a129, v3
	;; [unrolled: 1-line block ×3, first 2 shown]
	v_accvgpr_read_b32 v17, a231
	v_pk_mul_f32 v[4:5], v[14:15], v[0:1] op_sel_hi:[1,0]
	v_accvgpr_write_b32 a236, v18
	v_accvgpr_write_b32 a188, v19
	v_pk_fma_f32 v[12:13], v[14:15], v[18:19], v[4:5] op_sel:[0,0,1] op_sel_hi:[1,0,0] neg_lo:[0,0,1] neg_hi:[0,0,1]
	v_pk_fma_f32 v[14:15], v[14:15], v[18:19], v[4:5] op_sel:[0,0,1] op_sel_hi:[1,0,0]
	v_accvgpr_write_b32 a235, v17
	v_accvgpr_write_b32 a234, v16
	v_accvgpr_read_b32 v24, a226
	v_accvgpr_read_b32 v18, a190
	;; [unrolled: 1-line block ×6, first 2 shown]
	v_pk_mul_f32 v[2:3], v[68:69], v[16:17] op_sel:[0,1]
	v_accvgpr_read_b32 v26, a228
	v_pk_mul_f32 v[4:5], v[18:19], v[24:25] op_sel:[0,1]
	v_mov_b32_e32 v0, v27
	v_accvgpr_read_b32 v23, a251
	v_pk_fma_f32 v[10:11], v[68:69], v[16:17], v[2:3] op_sel:[0,0,1] op_sel_hi:[1,1,0] neg_lo:[0,0,1] neg_hi:[0,0,1]
	v_pk_fma_f32 v[2:3], v[68:69], v[16:17], v[2:3] op_sel:[0,0,1] op_sel_hi:[1,0,0]
	v_pk_fma_f32 v[16:17], v[18:19], v[24:25], v[4:5] op_sel:[0,0,1] op_sel_hi:[1,0,0] neg_lo:[0,0,1] neg_hi:[0,0,1]
	v_pk_fma_f32 v[18:19], v[18:19], v[24:25], v[4:5] op_sel:[0,0,1] op_sel_hi:[1,0,0]
	v_pk_mul_f32 v[4:5], v[22:23], v[0:1] op_sel_hi:[1,0]
	v_accvgpr_write_b32 a232, v26
	v_accvgpr_write_b32 a190, v27
	v_pk_fma_f32 v[20:21], v[22:23], v[26:27], v[4:5] op_sel:[0,0,1] op_sel_hi:[1,0,0] neg_lo:[0,0,1] neg_hi:[0,0,1]
	v_pk_fma_f32 v[22:23], v[22:23], v[26:27], v[4:5] op_sel:[0,0,1] op_sel_hi:[1,0,0]
	v_accvgpr_write_b32 a231, v25
	v_accvgpr_write_b32 a230, v24
	v_accvgpr_read_b32 v40, a192
	v_accvgpr_read_b32 v26, a50
	;; [unrolled: 1-line block ×5, first 2 shown]
	v_pk_mul_f32 v[4:5], v[26:27], v[40:41] op_sel:[0,1]
	v_mov_b32_e32 v0, v43
	v_accvgpr_read_b32 v44, a222
	v_accvgpr_read_b32 v42, a194
	v_pk_fma_f32 v[24:25], v[26:27], v[40:41], v[4:5] op_sel:[0,0,1] op_sel_hi:[1,0,0] neg_lo:[0,0,1] neg_hi:[0,0,1]
	v_pk_fma_f32 v[26:27], v[26:27], v[40:41], v[4:5] op_sel:[0,0,1] op_sel_hi:[1,0,0]
	v_pk_mul_f32 v[4:5], v[74:75], v[0:1] op_sel_hi:[1,0]
	v_accvgpr_read_b32 v45, a223
	v_pk_fma_f32 v[28:29], v[74:75], v[42:43], v[4:5] op_sel:[0,0,1] op_sel_hi:[1,0,0] neg_lo:[0,0,1] neg_hi:[0,0,1]
	v_pk_fma_f32 v[30:31], v[74:75], v[42:43], v[4:5] op_sel:[0,0,1] op_sel_hi:[1,0,0]
	v_pk_mul_f32 v[4:5], v[226:227], v[44:45] op_sel:[0,1]
	v_accvgpr_read_b32 v47, a225
	v_pk_fma_f32 v[36:37], v[226:227], v[44:45], v[4:5] op_sel:[0,0,1] op_sel_hi:[1,0,0] neg_lo:[0,0,1] neg_hi:[0,0,1]
	v_pk_fma_f32 v[4:5], v[226:227], v[44:45], v[4:5] op_sel:[0,0,1] op_sel_hi:[1,0,0]
	v_accvgpr_read_b32 v44, a80
	v_accvgpr_read_b32 v45, a81
	v_pk_fma_f32 v[32:33], v[32:33], s[18:19], v[44:45] neg_lo:[0,0,1] neg_hi:[0,0,1]
	v_accvgpr_write_b32 a228, v42
	v_mov_b32_e32 v151, v33
	v_accvgpr_read_b32 v32, a82
	v_accvgpr_read_b32 v33, a83
	v_pk_fma_f32 v[32:33], v[34:35], s[14:15], v[32:33] neg_lo:[0,0,1] neg_hi:[0,0,1]
	v_accvgpr_read_b32 v34, a238
	v_accvgpr_read_b32 v35, a239
	v_pk_fma_f32 v[34:35], v[38:39], s[12:13], v[34:35] neg_lo:[0,0,1] neg_hi:[0,0,1]
	v_mov_b32_e32 v135, v33
	v_mov_b32_e32 v127, v35
	v_accvgpr_read_b32 v34, a240
	v_accvgpr_read_b32 v35, a241
	v_pk_fma_f32 v[34:35], v[48:49], s[16:17], v[34:35] neg_lo:[0,0,1] neg_hi:[0,0,1]
	v_pk_add_f32 v[32:33], v[194:195], v[150:151]
	v_mov_b32_e32 v117, v35
	v_accvgpr_read_b32 v34, a242
	v_accvgpr_read_b32 v35, a243
	v_pk_fma_f32 v[34:35], v[50:51], s[0:1], v[34:35] neg_lo:[0,0,1] neg_hi:[0,0,1]
	v_pk_add_f32 v[32:33], v[134:135], v[32:33]
	;; [unrolled: 5-line block ×3, first 2 shown]
	v_mov_b32_e32 v113, v35
	v_accvgpr_read_b32 v34, a246
	v_pk_add_f32 v[32:33], v[116:117], v[32:33]
	v_accvgpr_read_b32 v35, a247
	v_pk_add_f32 v[32:33], v[108:109], v[32:33]
	v_pk_fma_f32 v[6:7], v[6:7], s[22:23], v[34:35] neg_lo:[0,0,1] neg_hi:[0,0,1]
	v_mov_b32_e32 v0, v47
	v_pk_add_f32 v[32:33], v[112:113], v[32:33]
	v_mov_b32_e32 v253, v7
	v_accvgpr_write_b32 a227, v41
	v_accvgpr_write_b32 a226, v40
	v_accvgpr_read_b32 v46, a224
	v_pk_mul_f32 v[40:41], v[62:63], v[0:1] op_sel_hi:[1,0]
	v_pk_add_f32 v[6:7], v[252:253], v[32:33]
	v_accvgpr_read_b32 v32, a248
	v_accvgpr_read_b32 v49, a19
	;; [unrolled: 1-line block ×3, first 2 shown]
	v_accvgpr_write_b32 a192, v43
	v_pk_fma_f32 v[42:43], v[62:63], v[46:47], v[40:41] op_sel:[0,0,1] op_sel_hi:[1,0,0] neg_lo:[0,0,1] neg_hi:[0,0,1]
	v_pk_fma_f32 v[40:41], v[62:63], v[46:47], v[40:41] op_sel:[0,0,1] op_sel_hi:[1,0,0]
	v_accvgpr_read_b32 v33, a249
	v_mov_b32_e32 v0, v197
	v_accvgpr_read_b32 v48, a18
	v_accvgpr_read_b32 v64, a14
	;; [unrolled: 1-line block ×4, first 2 shown]
	v_pk_fma_f32 v[32:33], v[222:223], s[24:25], v[32:33] neg_lo:[0,0,1] neg_hi:[0,0,1]
	v_mov_b32_e32 v9, v1
	v_mov_b32_e32 v11, v3
	v_pk_add_f32 v[0:1], v[0:1], v[48:49]
	v_pk_add_f32 v[2:3], v[196:197], v[64:65]
	v_accvgpr_read_b32 v62, a20
	v_accvgpr_read_b32 v50, a26
	v_accvgpr_read_b32 v61, a55
	v_accvgpr_read_b32 v44, a56
	v_mov_b32_e32 v225, v33
	v_pk_add_f32 v[2:3], v[2:3], v[62:63]
	v_pk_add_f32 v[0:1], v[0:1], v[50:51]
	v_accvgpr_read_b32 v60, a54
	v_accvgpr_read_b32 v45, a57
	;; [unrolled: 1-line block ×4, first 2 shown]
	v_pk_add_f32 v[2:3], v[2:3], v[60:61]
	v_pk_add_f32 v[0:1], v[0:1], v[44:45]
	v_accvgpr_read_b32 v59, a59
	v_accvgpr_read_b32 v33, a61
	v_accvgpr_read_b32 v56, a64
	v_accvgpr_read_b32 v38, a70
	v_pk_add_f32 v[2:3], v[2:3], v[58:59]
	v_pk_add_f32 v[0:1], v[0:1], v[32:33]
	v_accvgpr_read_b32 v57, a65
	v_accvgpr_read_b32 v39, a71
	v_pk_add_f32 v[6:7], v[224:225], v[6:7]
	v_pk_add_f32 v[2:3], v[2:3], v[56:57]
	v_pk_add_f32 v[0:1], v[0:1], v[38:39]
	v_accvgpr_read_b32 v54, a62
	v_accvgpr_read_b32 v34, a66
	ds_write_b64 v88, v[6:7] offset:896
	v_mov_b32_e32 v3, v0
	v_mov_b32_e32 v0, v54
	;; [unrolled: 1-line block ×3, first 2 shown]
	v_accvgpr_read_b32 v52, a72
	v_accvgpr_read_b32 v6, a74
	v_pk_add_f32 v[0:1], v[2:3], v[0:1]
	v_mov_b32_e32 v2, v52
	v_mov_b32_e32 v3, v6
	v_pk_add_f32 v[0:1], v[0:1], v[2:3]
	v_mov_b32_e32 v2, v12
	v_pk_add_f32 v[0:1], v[0:1], v[8:9]
	;; [unrolled: 2-line block ×3, first 2 shown]
	v_accvgpr_write_b32 a194, v47
	v_pk_add_f32 v[0:1], v[0:1], v[2:3]
	v_mov_b32_e32 v2, v16
	v_mov_b32_e32 v3, v19
	v_pk_add_f32 v[0:1], v[0:1], v[2:3]
	v_mov_b32_e32 v2, v20
	v_mov_b32_e32 v3, v23
	;; [unrolled: 3-line block ×6, first 2 shown]
	v_pk_add_f32 v[46:47], v[0:1], v[2:3]
	v_accvgpr_read_b32 v0, a14
	v_accvgpr_read_b32 v1, a15
	v_pk_add_f32 v[154:155], v[0:1], v[42:43]
	v_pk_add_f32 v[0:1], v[0:1], v[42:43] neg_lo:[0,1] neg_hi:[0,1]
	v_accvgpr_read_b32 v43, a19
	v_accvgpr_read_b32 v42, a18
	v_mov_b32_e32 v2, v41
	v_pk_add_f32 v[160:161], v[42:43], v[2:3] neg_lo:[0,1] neg_hi:[0,1]
	v_accvgpr_read_b32 v2, a20
	v_accvgpr_read_b32 v3, a21
	v_mov_b32_e32 v1, v48
	v_pk_add_f32 v[156:157], v[2:3], v[36:37]
	v_pk_add_f32 v[36:37], v[2:3], v[36:37] neg_lo:[0,1] neg_hi:[0,1]
	v_mov_b32_e32 v2, v5
	v_pk_add_f32 v[48:49], v[0:1], v[40:41]
	v_mov_b32_e32 v1, v50
	v_pk_add_f32 v[50:51], v[50:51], v[2:3] neg_lo:[0,1] neg_hi:[0,1]
	v_accvgpr_read_b32 v2, a54
	v_accvgpr_read_b32 v3, a55
	v_pk_add_f32 v[158:159], v[2:3], v[28:29]
	v_pk_add_f32 v[28:29], v[2:3], v[28:29] neg_lo:[0,1] neg_hi:[0,1]
	v_mov_b32_e32 v2, v31
	v_pk_add_f32 v[188:189], v[0:1], v[4:5]
	v_mov_b32_e32 v1, v44
	v_pk_add_f32 v[44:45], v[44:45], v[2:3] neg_lo:[0,1] neg_hi:[0,1]
	v_accvgpr_read_b32 v2, a58
	v_accvgpr_read_b32 v3, a59
	;; [unrolled: 1-line block ×3, first 2 shown]
	v_pk_add_f32 v[162:163], v[2:3], v[24:25]
	v_pk_add_f32 v[24:25], v[2:3], v[24:25] neg_lo:[0,1] neg_hi:[0,1]
	v_accvgpr_read_b32 v5, a61
	v_mov_b32_e32 v2, v27
	v_pk_add_f32 v[208:209], v[0:1], v[30:31]
	v_mov_b32_e32 v1, v32
	v_pk_add_f32 v[212:213], v[4:5], v[2:3] neg_lo:[0,1] neg_hi:[0,1]
	v_accvgpr_read_b32 v2, a64
	v_pk_add_f32 v[32:33], v[0:1], v[26:27]
	v_accvgpr_read_b32 v3, a65
	v_mov_b32_e32 v1, v38
	v_accvgpr_read_b32 v4, a70
	v_pk_add_f32 v[190:191], v[2:3], v[20:21]
	v_pk_add_f32 v[20:21], v[2:3], v[20:21] neg_lo:[0,1] neg_hi:[0,1]
	v_accvgpr_read_b32 v5, a71
	v_pk_add_f32 v[38:39], v[0:1], v[22:23]
	v_mov_b32_e32 v2, v23
	v_mov_b32_e32 v1, v34
	v_pk_add_f32 v[216:217], v[4:5], v[2:3] neg_lo:[0,1] neg_hi:[0,1]
	v_accvgpr_read_b32 v2, a62
	v_pk_add_f32 v[60:61], v[0:1], v[18:19]
	v_mov_b32_e32 v1, v6
	v_mov_b32_e32 v155, v0
	v_accvgpr_read_b32 v3, a63
	v_pk_add_f32 v[222:223], v[0:1], v[14:15]
	v_pk_mul_f32 v[0:1], v[154:155], s[38:39]
	v_accvgpr_read_b32 v35, a67
	v_pk_add_f32 v[210:211], v[2:3], v[16:17]
	v_pk_add_f32 v[16:17], v[2:3], v[16:17] neg_lo:[0,1] neg_hi:[0,1]
	v_mov_b32_e32 v2, v19
	v_mov_b32_e32 v157, v36
	v_mov_b32_e32 v48, v160
	v_accvgpr_write_b32 a27, v1
	v_pk_add_f32 v[220:221], v[34:35], v[2:3] neg_lo:[0,1] neg_hi:[0,1]
	v_accvgpr_read_b32 v2, a72
	v_pk_add_f32 v[218:219], v[8:9], v[10:11]
	v_pk_add_f32 v[8:9], v[8:9], v[10:11] neg_lo:[0,1] neg_hi:[0,1]
	v_pk_fma_f32 v[10:11], v[160:161], s[18:19], v[0:1] neg_lo:[1,0,0] neg_hi:[1,0,0]
	v_pk_fma_f32 v[76:77], v[48:49], s[18:19], v[0:1]
	v_accvgpr_write_b32 a26, v0
	v_pk_mul_f32 v[0:1], v[156:157], s[40:41]
	v_accvgpr_read_b32 v3, a73
	v_mov_b32_e32 v188, v50
	v_accvgpr_write_b32 a15, v1
	v_mov_b32_e32 v159, v28
	v_pk_add_f32 v[214:215], v[2:3], v[12:13]
	v_pk_add_f32 v[12:13], v[2:3], v[12:13] neg_lo:[0,1] neg_hi:[0,1]
	v_mov_b32_e32 v2, v15
	v_mov_b32_e32 v11, v77
	v_pk_fma_f32 v[14:15], v[50:51], s[14:15], v[0:1] neg_lo:[1,0,0] neg_hi:[1,0,0]
	v_pk_fma_f32 v[100:101], v[188:189], s[14:15], v[0:1]
	v_accvgpr_write_b32 a14, v0
	v_pk_mul_f32 v[0:1], v[158:159], s[52:53]
	v_pk_add_f32 v[10:11], v[196:197], v[10:11]
	v_mov_b32_e32 v15, v101
	v_mov_b32_e32 v208, v44
	v_accvgpr_write_b32 a19, v1
	v_mov_b32_e32 v163, v24
	v_pk_add_f32 v[10:11], v[14:15], v[10:11]
	v_pk_fma_f32 v[14:15], v[44:45], s[12:13], v[0:1] neg_lo:[1,0,0] neg_hi:[1,0,0]
	v_pk_fma_f32 v[88:89], v[208:209], s[12:13], v[0:1]
	v_accvgpr_write_b32 a18, v0
	v_pk_mul_f32 v[0:1], v[162:163], s[42:43]
	v_mov_b32_e32 v15, v89
	v_mov_b32_e32 v32, v212
	v_accvgpr_write_b32 a21, v1
	v_mov_b32_e32 v191, v20
	v_pk_add_f32 v[10:11], v[14:15], v[10:11]
	v_pk_fma_f32 v[14:15], v[212:213], s[16:17], v[0:1] neg_lo:[1,0,0] neg_hi:[1,0,0]
	v_pk_fma_f32 v[74:75], v[32:33], s[16:17], v[0:1]
	v_accvgpr_write_b32 a20, v0
	v_pk_mul_f32 v[0:1], v[190:191], s[36:37]
	;; [unrolled: 9-line block ×3, first 2 shown]
	v_accvgpr_read_b32 v7, a75
	v_mov_b32_e32 v15, v79
	v_mov_b32_e32 v60, v220
	v_accvgpr_write_b32 a55, v1
	v_mov_b32_e32 v215, v12
	v_pk_add_f32 v[34:35], v[6:7], v[2:3] neg_lo:[0,1] neg_hi:[0,1]
	v_pk_add_f32 v[10:11], v[14:15], v[10:11]
	v_pk_fma_f32 v[14:15], v[220:221], s[20:21], v[0:1] neg_lo:[1,0,0] neg_hi:[1,0,0]
	v_pk_fma_f32 v[96:97], v[60:61], s[20:21], v[0:1]
	v_accvgpr_write_b32 a54, v0
	v_pk_mul_f32 v[0:1], v[214:215], s[46:47]
	v_mov_b32_e32 v222, v34
	v_accvgpr_write_b32 a57, v1
	v_mov_b32_e32 v113, v219
	v_mov_b32_e32 v219, v8
	v_pk_fma_f32 v[12:13], v[34:35], s[22:23], v[0:1] neg_lo:[1,0,0] neg_hi:[1,0,0]
	v_pk_fma_f32 v[108:109], v[222:223], s[22:23], v[0:1]
	v_accvgpr_write_b32 a56, v0
	v_pk_mul_f32 v[0:1], v[218:219], s[54:55]
	v_mov_b32_e32 v112, v9
	v_accvgpr_write_b32 a59, v1
	v_pk_fma_f32 v[8:9], v[112:113], s[24:25], v[0:1] neg_lo:[1,0,0] neg_hi:[1,0,0]
	v_pk_fma_f32 v[114:115], v[112:113], s[24:25], v[0:1]
	v_accvgpr_write_b32 a58, v0
	v_accvgpr_read_b32 v0, a3
	v_mul_u32_u24_e32 v0, 0x77, v0
	v_accvgpr_read_b32 v1, a7
	v_add_u32_sdwa v0, v0, v1 dst_sel:DWORD dst_unused:UNUSED_PAD src0_sel:DWORD src1_sel:BYTE_0
	scratch_load_dword v1, off, off         ; 4-byte Folded Reload
	v_mov_b32_e32 v15, v97
	v_pk_add_f32 v[10:11], v[14:15], v[10:11]
	v_mov_b32_e32 v13, v109
	v_pk_add_f32 v[10:11], v[12:13], v[10:11]
	;; [unrolled: 2-line block ×3, first 2 shown]
	v_pk_mul_f32 v[128:129], v[154:155], s[52:53]
	v_pk_mul_f32 v[118:119], v[156:157], s[44:45]
	v_pk_fma_f32 v[12:13], v[160:161], s[12:13], v[128:129] neg_lo:[1,0,0] neg_hi:[1,0,0]
	v_pk_fma_f32 v[66:67], v[48:49], s[12:13], v[128:129]
	v_pk_fma_f32 v[18:19], v[50:51], s[20:21], v[118:119] neg_lo:[1,0,0] neg_hi:[1,0,0]
	v_mov_b32_e32 v13, v67
	v_pk_fma_f32 v[64:65], v[188:189], s[20:21], v[118:119]
	v_pk_mul_f32 v[116:117], v[158:159], s[74:75]
	v_accvgpr_read_b32 v55, a63
	v_pk_add_f32 v[16:17], v[196:197], v[12:13]
	v_mov_b32_e32 v19, v65
	v_pk_fma_f32 v[22:23], v[44:45], s[48:49], v[116:117] neg_lo:[1,0,0] neg_hi:[1,0,0]
	v_pk_fma_f32 v[62:63], v[208:209], s[48:49], v[116:117]
	v_pk_add_f32 v[20:21], v[18:19], v[16:17]
	v_mov_b32_e32 v23, v63
	v_pk_mul_f32 v[110:111], v[162:163], s[66:67]
	v_pk_add_f32 v[24:25], v[22:23], v[20:21]
	v_pk_fma_f32 v[26:27], v[212:213], s[28:29], v[110:111] neg_lo:[1,0,0] neg_hi:[1,0,0]
	v_pk_fma_f32 v[20:21], v[32:33], s[28:29], v[110:111]
	v_pk_mul_f32 v[152:153], v[190:191], s[70:71]
	v_mov_b32_e32 v27, v21
	v_pk_mul_f32 v[106:107], v[190:191], s[64:65]
	v_pk_fma_f32 v[120:121], v[38:39], s[26:27], v[152:153]
	v_pk_add_f32 v[28:29], v[26:27], v[24:25]
	v_pk_fma_f32 v[30:31], v[216:217], s[50:51], v[106:107] neg_lo:[1,0,0] neg_hi:[1,0,0]
	v_pk_fma_f32 v[24:25], v[38:39], s[50:51], v[106:107]
	v_pk_mul_f32 v[132:133], v[210:211], s[66:67]
	v_mov_b32_e32 v31, v25
	v_pk_mul_f32 v[102:103], v[210:211], s[38:39]
	v_pk_fma_f32 v[122:123], v[60:61], s[28:29], v[132:133]
	;; [unrolled: 7-line block ×4, first 2 shown]
	v_pk_add_f32 v[40:41], v[42:43], v[40:41]
	v_pk_fma_f32 v[42:43], v[112:113], s[22:23], v[142:143] neg_lo:[1,0,0] neg_hi:[1,0,0]
	v_pk_fma_f32 v[134:135], v[112:113], s[22:23], v[142:143]
	v_accvgpr_read_b32 v53, a73
	v_mov_b32_e32 v43, v135
	v_pk_add_f32 v[40:41], v[42:43], v[40:41]
	v_pk_mul_f32 v[30:31], v[156:157], s[54:55]
	v_pk_mul_f32 v[164:165], v[162:163], s[62:63]
	v_pk_fma_f32 v[52:53], v[50:51], s[24:25], v[30:31] neg_lo:[1,0,0] neg_hi:[1,0,0]
	v_pk_fma_f32 v[58:59], v[212:213], s[34:35], v[164:165] neg_lo:[1,0,0] neg_hi:[1,0,0]
	v_pk_mul_f32 v[192:193], v[214:215], s[72:73]
	v_pk_mul_f32 v[26:27], v[218:219], s[64:65]
	v_pk_fma_f32 v[86:87], v[34:35], s[56:57], v[192:193] neg_lo:[1,0,0] neg_hi:[1,0,0]
	v_pk_fma_f32 v[194:195], v[112:113], s[50:51], v[26:27]
	v_pk_mul_f32 v[22:23], v[156:157], s[70:71]
	v_pk_mul_f32 v[224:225], v[162:163], s[52:53]
	v_pk_fma_f32 v[92:93], v[50:51], s[26:27], v[22:23] neg_lo:[1,0,0] neg_hi:[1,0,0]
	v_pk_fma_f32 v[136:137], v[212:213], s[12:13], v[224:225] neg_lo:[1,0,0] neg_hi:[1,0,0]
	v_pk_mul_f32 v[228:229], v[190:191], s[54:55]
	v_pk_mul_f32 v[232:233], v[210:211], s[68:69]
	v_pk_fma_f32 v[226:227], v[38:39], s[24:25], v[228:229]
	v_pk_fma_f32 v[230:231], v[60:61], s[58:59], v[232:233]
	v_pk_mul_f32 v[236:237], v[214:215], s[38:39]
	v_pk_mul_f32 v[144:145], v[156:157], s[66:67]
	v_pk_fma_f32 v[234:235], v[222:223], s[18:19], v[236:237]
	v_pk_fma_f32 v[148:149], v[50:51], s[28:29], v[144:145] neg_lo:[1,0,0] neg_hi:[1,0,0]
	v_pk_fma_f32 v[150:151], v[188:189], s[28:29], v[144:145]
	v_pk_mul_f32 v[248:249], v[156:157], s[60:61]
	v_mov_b32_e32 v149, v151
	s_waitcnt vmcnt(0)
	v_lshl_add_u32 v72, v0, 3, v1
	v_pk_mul_f32 v[0:1], v[154:155], s[40:41]
	ds_write2_b64 v72, v[46:47], v[8:9] offset1:7
	v_accvgpr_write_b32 a31, v1
	v_pk_fma_f32 v[8:9], v[160:161], s[14:15], v[0:1] neg_lo:[1,0,0] neg_hi:[1,0,0]
	v_pk_fma_f32 v[70:71], v[48:49], s[14:15], v[0:1]
	v_accvgpr_write_b32 a30, v0
	v_pk_mul_f32 v[0:1], v[156:157], s[42:43]
	v_mov_b32_e32 v9, v71
	v_pk_fma_f32 v[10:11], v[50:51], s[16:17], v[0:1] neg_lo:[1,0,0] neg_hi:[1,0,0]
	v_pk_fma_f32 v[68:69], v[188:189], s[16:17], v[0:1]
	v_accvgpr_write_b32 a61, v1
	v_pk_add_f32 v[8:9], v[196:197], v[8:9]
	v_accvgpr_write_b32 a60, v0
	v_mov_b32_e32 v11, v69
	v_pk_mul_f32 v[0:1], v[158:159], s[44:45]
	v_pk_add_f32 v[8:9], v[10:11], v[8:9]
	v_pk_fma_f32 v[10:11], v[44:45], s[20:21], v[0:1] neg_lo:[1,0,0] neg_hi:[1,0,0]
	v_pk_fma_f32 v[124:125], v[208:209], s[20:21], v[0:1]
	v_accvgpr_write_b32 a63, v1
	v_accvgpr_write_b32 a62, v0
	v_mov_b32_e32 v11, v125
	v_pk_mul_f32 v[0:1], v[162:163], s[54:55]
	v_pk_add_f32 v[8:9], v[10:11], v[8:9]
	v_pk_fma_f32 v[10:11], v[212:213], s[24:25], v[0:1] neg_lo:[1,0,0] neg_hi:[1,0,0]
	v_pk_fma_f32 v[140:141], v[32:33], s[24:25], v[0:1]
	v_pk_fma_f32 v[250:251], v[50:51], s[30:31], v[248:249] neg_lo:[1,0,0] neg_hi:[1,0,0]
	v_mov_b32_e32 v11, v141
	v_pk_add_f32 v[8:9], v[10:11], v[8:9]
	v_pk_fma_f32 v[10:11], v[216:217], s[26:27], v[152:153] neg_lo:[1,0,0] neg_hi:[1,0,0]
	v_pk_fma_f32 v[252:253], v[188:189], s[30:31], v[248:249]
	v_mov_b32_e32 v11, v121
	v_pk_add_f32 v[8:9], v[10:11], v[8:9]
	v_pk_fma_f32 v[10:11], v[220:221], s[28:29], v[132:133] neg_lo:[1,0,0] neg_hi:[1,0,0]
	v_mov_b32_e32 v251, v253
	v_mov_b32_e32 v11, v123
	v_pk_add_f32 v[8:9], v[10:11], v[8:9]
	v_pk_fma_f32 v[10:11], v[34:35], s[30:31], v[202:203] neg_lo:[1,0,0] neg_hi:[1,0,0]
	v_accvgpr_write_b32 a65, v1
	v_mov_b32_e32 v11, v201
	v_pk_add_f32 v[8:9], v[10:11], v[8:9]
	v_pk_fma_f32 v[10:11], v[112:113], s[34:35], v[206:207] neg_lo:[1,0,0] neg_hi:[1,0,0]
	v_accvgpr_write_b32 a64, v0
	v_mov_b32_e32 v11, v205
	v_pk_add_f32 v[36:37], v[10:11], v[8:9]
	ds_write2_b64 v72, v[36:37], v[40:41] offset0:14 offset1:21
	v_pk_mul_f32 v[40:41], v[154:155], s[42:43]
	v_pk_mul_f32 v[18:19], v[210:211], s[54:55]
	v_pk_fma_f32 v[42:43], v[160:161], s[16:17], v[40:41] neg_lo:[1,0,0] neg_hi:[1,0,0]
	v_pk_fma_f32 v[36:37], v[48:49], s[16:17], v[40:41]
	v_pk_fma_f32 v[6:7], v[60:61], s[24:25], v[18:19]
	v_mov_b32_e32 v43, v37
	v_pk_add_f32 v[46:47], v[196:197], v[42:43]
	v_pk_fma_f32 v[42:43], v[188:189], s[24:25], v[30:31]
	v_pk_mul_f32 v[16:17], v[214:215], s[64:65]
	v_mov_b32_e32 v53, v43
	v_pk_add_f32 v[54:55], v[52:53], v[46:47]
	v_pk_mul_f32 v[52:53], v[158:159], s[66:67]
	v_pk_fma_f32 v[4:5], v[222:223], s[50:51], v[16:17]
	v_pk_fma_f32 v[56:57], v[44:45], s[28:29], v[52:53] neg_lo:[1,0,0] neg_hi:[1,0,0]
	v_pk_fma_f32 v[46:47], v[208:209], s[28:29], v[52:53]
	v_pk_mul_f32 v[14:15], v[218:219], s[36:37]
	v_mov_b32_e32 v57, v47
	v_pk_add_f32 v[56:57], v[56:57], v[54:55]
	v_pk_fma_f32 v[54:55], v[32:33], s[34:35], v[164:165]
	v_accvgpr_write_b32 a177, v72
	v_mov_b32_e32 v59, v55
	v_pk_add_f32 v[58:59], v[58:59], v[56:57]
	v_pk_mul_f32 v[56:57], v[190:191], s[52:53]
	s_nop 0
	v_pk_fma_f32 v[80:81], v[216:217], s[12:13], v[56:57] neg_lo:[1,0,0] neg_hi:[1,0,0]
	v_pk_fma_f32 v[166:167], v[38:39], s[12:13], v[56:57]
	s_nop 0
	v_mov_b32_e32 v81, v167
	v_pk_add_f32 v[82:83], v[80:81], v[58:59]
	v_pk_mul_f32 v[80:81], v[210:211], s[46:47]
	s_nop 0
	v_pk_fma_f32 v[84:85], v[220:221], s[22:23], v[80:81] neg_lo:[1,0,0] neg_hi:[1,0,0]
	v_pk_fma_f32 v[58:59], v[60:61], s[22:23], v[80:81]
	s_nop 0
	v_mov_b32_e32 v85, v59
	v_pk_add_f32 v[84:85], v[84:85], v[82:83]
	v_pk_fma_f32 v[82:83], v[222:223], s[56:57], v[192:193]
	s_nop 0
	v_mov_b32_e32 v87, v83
	v_pk_add_f32 v[84:85], v[86:87], v[84:85]
	v_pk_fma_f32 v[86:87], v[112:113], s[50:51], v[26:27] neg_lo:[1,0,0] neg_hi:[1,0,0]
	s_nop 0
	v_mov_b32_e32 v87, v195
	v_pk_add_f32 v[130:131], v[86:87], v[84:85]
	v_pk_mul_f32 v[84:85], v[154:155], s[36:37]
	s_nop 0
	v_pk_fma_f32 v[86:87], v[160:161], s[0:1], v[84:85] neg_lo:[1,0,0] neg_hi:[1,0,0]
	v_pk_fma_f32 v[198:199], v[48:49], s[0:1], v[84:85]
	s_nop 0
	v_mov_b32_e32 v87, v199
	v_pk_add_f32 v[90:91], v[196:197], v[86:87]
	v_pk_fma_f32 v[86:87], v[188:189], s[26:27], v[22:23]
	s_nop 0
	v_mov_b32_e32 v93, v87
	v_pk_add_f32 v[94:95], v[92:93], v[90:91]
	v_pk_mul_f32 v[92:93], v[158:159], s[64:65]
	s_nop 0
	v_pk_fma_f32 v[104:105], v[44:45], s[50:51], v[92:93] neg_lo:[1,0,0] neg_hi:[1,0,0]
	v_pk_fma_f32 v[90:91], v[208:209], s[50:51], v[92:93]
	s_nop 0
	v_mov_b32_e32 v105, v91
	v_pk_add_f32 v[104:105], v[104:105], v[94:95]
	v_pk_fma_f32 v[94:95], v[32:33], s[12:13], v[224:225]
	s_nop 0
	v_mov_b32_e32 v137, v95
	v_pk_add_f32 v[104:105], v[136:137], v[104:105]
	v_pk_fma_f32 v[136:137], v[216:217], s[24:25], v[228:229] neg_lo:[1,0,0] neg_hi:[1,0,0]
	s_nop 0
	v_mov_b32_e32 v137, v227
	v_pk_add_f32 v[104:105], v[136:137], v[104:105]
	v_pk_fma_f32 v[136:137], v[220:221], s[58:59], v[232:233] neg_lo:[1,0,0] neg_hi:[1,0,0]
	;; [unrolled: 4-line block ×3, first 2 shown]
	s_nop 0
	v_mov_b32_e32 v137, v235
	v_pk_add_f32 v[136:137], v[136:137], v[104:105]
	v_pk_mul_f32 v[104:105], v[218:219], s[44:45]
	s_nop 0
	v_pk_fma_f32 v[138:139], v[112:113], s[20:21], v[104:105] neg_lo:[1,0,0] neg_hi:[1,0,0]
	v_pk_fma_f32 v[238:239], v[112:113], s[20:21], v[104:105]
	s_nop 0
	v_mov_b32_e32 v139, v239
	v_pk_add_f32 v[136:137], v[138:139], v[136:137]
	ds_write2_b64 v72, v[130:131], v[136:137] offset0:28 offset1:35
	v_pk_mul_f32 v[130:131], v[154:155], s[44:45]
	s_nop 0
	v_pk_fma_f32 v[136:137], v[160:161], s[20:21], v[130:131] neg_lo:[1,0,0] neg_hi:[1,0,0]
	v_pk_fma_f32 v[138:139], v[48:49], s[20:21], v[130:131]
	s_nop 0
	v_mov_b32_e32 v137, v139
	v_pk_add_f32 v[136:137], v[196:197], v[136:137]
	s_nop 0
	v_pk_add_f32 v[136:137], v[148:149], v[136:137]
	v_pk_mul_f32 v[148:149], v[158:159], s[38:39]
	s_nop 0
	v_pk_fma_f32 v[168:169], v[44:45], s[18:19], v[148:149] neg_lo:[1,0,0] neg_hi:[1,0,0]
	v_pk_fma_f32 v[170:171], v[208:209], s[18:19], v[148:149]
	s_nop 0
	v_mov_b32_e32 v169, v171
	v_pk_add_f32 v[136:137], v[168:169], v[136:137]
	v_pk_mul_f32 v[168:169], v[162:163], s[46:47]
	s_nop 0
	v_pk_fma_f32 v[172:173], v[212:213], s[22:23], v[168:169] neg_lo:[1,0,0] neg_hi:[1,0,0]
	v_pk_fma_f32 v[174:175], v[32:33], s[22:23], v[168:169]
	s_nop 0
	v_mov_b32_e32 v173, v175
	;; [unrolled: 7-line block ×7, first 2 shown]
	v_pk_add_f32 v[244:245], v[196:197], v[244:245]
	s_nop 0
	v_pk_add_f32 v[244:245], v[250:251], v[244:245]
	v_pk_mul_f32 v[250:251], v[158:159], s[42:43]
	s_nop 0
	v_pk_fma_f32 v[254:255], v[44:45], s[16:17], v[250:251] neg_lo:[1,0,0] neg_hi:[1,0,0]
	v_pk_fma_f32 v[146:147], v[208:209], s[16:17], v[250:251]
	s_nop 0
	v_mov_b32_e32 v255, v147
	v_pk_add_f32 v[244:245], v[254:255], v[244:245]
	v_pk_mul_f32 v[254:255], v[162:163], s[72:73]
	s_nop 0
	v_pk_fma_f32 v[0:1], v[212:213], s[56:57], v[254:255] neg_lo:[1,0,0] neg_hi:[1,0,0]
	v_pk_fma_f32 v[10:11], v[32:33], s[56:57], v[254:255]
	s_nop 0
	v_mov_b32_e32 v1, v11
	;; [unrolled: 7-line block ×3, first 2 shown]
	v_pk_add_f32 v[2:3], v[0:1], v[2:3]
	v_pk_fma_f32 v[0:1], v[220:221], s[24:25], v[18:19] neg_lo:[1,0,0] neg_hi:[1,0,0]
	s_nop 0
	v_mov_b32_e32 v1, v7
	v_pk_add_f32 v[2:3], v[0:1], v[2:3]
	v_pk_fma_f32 v[0:1], v[34:35], s[50:51], v[16:17] neg_lo:[1,0,0] neg_hi:[1,0,0]
	s_nop 0
	v_mov_b32_e32 v1, v5
	v_pk_add_f32 v[12:13], v[0:1], v[2:3]
	v_pk_fma_f32 v[0:1], v[112:113], s[0:1], v[14:15] neg_lo:[1,0,0] neg_hi:[1,0,0]
	v_pk_fma_f32 v[2:3], v[112:113], s[0:1], v[14:15]
	s_nop 0
	v_mov_b32_e32 v1, v3
	v_pk_add_f32 v[0:1], v[0:1], v[12:13]
	ds_write2_b64 v72, v[136:137], v[0:1] offset0:42 offset1:49
	v_pk_mul_f32 v[0:1], v[154:155], s[54:55]
	v_pk_mul_f32 v[154:155], v[156:157], s[62:63]
	v_pk_fma_f32 v[12:13], v[160:161], s[24:25], v[0:1] neg_lo:[1,0,0] neg_hi:[1,0,0]
	v_pk_fma_f32 v[136:137], v[48:49], s[24:25], v[0:1]
	v_pk_fma_f32 v[50:51], v[50:51], s[34:35], v[154:155] neg_lo:[1,0,0] neg_hi:[1,0,0]
	v_mov_b32_e32 v13, v137
	v_pk_fma_f32 v[156:157], v[188:189], s[34:35], v[154:155]
	v_pk_add_f32 v[12:13], v[196:197], v[12:13]
	v_mov_b32_e32 v51, v157
	v_pk_add_f32 v[12:13], v[50:51], v[12:13]
	v_pk_mul_f32 v[50:51], v[158:159], s[46:47]
	v_pk_fma_f32 v[0:1], v[48:49], s[24:25], v[0:1] neg_lo:[0,0,1] neg_hi:[0,0,1]
	v_pk_fma_f32 v[44:45], v[44:45], s[22:23], v[50:51] neg_lo:[1,0,0] neg_hi:[1,0,0]
	v_pk_fma_f32 v[158:159], v[208:209], s[22:23], v[50:51]
	v_mov_b32_e32 v137, v1
	v_mov_b32_e32 v45, v159
	v_pk_add_f32 v[12:13], v[44:45], v[12:13]
	v_pk_mul_f32 v[44:45], v[162:163], s[64:65]
	v_pk_fma_f32 v[0:1], v[188:189], s[34:35], v[154:155] neg_lo:[0,0,1] neg_hi:[0,0,1]
	v_pk_fma_f32 v[160:161], v[212:213], s[50:51], v[44:45] neg_lo:[1,0,0] neg_hi:[1,0,0]
	v_pk_fma_f32 v[162:163], v[32:33], s[50:51], v[44:45]
	v_mov_b32_e32 v157, v1
	v_mov_b32_e32 v161, v163
	v_pk_add_f32 v[12:13], v[160:161], v[12:13]
	v_pk_mul_f32 v[160:161], v[190:191], s[44:45]
	v_pk_add_f32 v[0:1], v[196:197], v[136:137]
	v_pk_fma_f32 v[190:191], v[216:217], s[20:21], v[160:161] neg_lo:[1,0,0] neg_hi:[1,0,0]
	v_pk_fma_f32 v[212:213], v[38:39], s[20:21], v[160:161]
	v_pk_fma_f32 v[50:51], v[208:209], s[22:23], v[50:51] neg_lo:[0,0,1] neg_hi:[0,0,1]
	v_mov_b32_e32 v191, v213
	v_pk_add_f32 v[12:13], v[190:191], v[12:13]
	v_pk_mul_f32 v[190:191], v[210:211], s[60:61]
	v_pk_add_f32 v[0:1], v[156:157], v[0:1]
	v_pk_fma_f32 v[210:211], v[220:221], s[30:31], v[190:191] neg_lo:[1,0,0] neg_hi:[1,0,0]
	v_pk_fma_f32 v[216:217], v[60:61], s[30:31], v[190:191]
	v_mov_b32_e32 v159, v51
	v_mov_b32_e32 v211, v217
	v_pk_add_f32 v[12:13], v[210:211], v[12:13]
	v_pk_mul_f32 v[210:211], v[214:215], s[36:37]
	v_pk_fma_f32 v[44:45], v[32:33], s[50:51], v[44:45] neg_lo:[0,0,1] neg_hi:[0,0,1]
	v_pk_fma_f32 v[34:35], v[34:35], s[0:1], v[210:211] neg_lo:[1,0,0] neg_hi:[1,0,0]
	v_pk_fma_f32 v[214:215], v[222:223], s[0:1], v[210:211]
	v_pk_add_f32 v[0:1], v[158:159], v[0:1]
	v_mov_b32_e32 v35, v215
	v_pk_add_f32 v[12:13], v[34:35], v[12:13]
	v_pk_mul_f32 v[34:35], v[218:219], s[68:69]
	v_mov_b32_e32 v163, v45
	v_pk_fma_f32 v[218:219], v[112:113], s[58:59], v[34:35] neg_lo:[1,0,0] neg_hi:[1,0,0]
	v_pk_fma_f32 v[220:221], v[112:113], s[58:59], v[34:35]
	v_pk_fma_f32 v[34:35], v[112:113], s[58:59], v[34:35] neg_lo:[0,0,1] neg_hi:[0,0,1]
	v_mov_b32_e32 v219, v221
	v_mov_b32_e32 v221, v35
	scratch_load_dword v35, off, off        ; 4-byte Folded Reload
	v_pk_fma_f32 v[44:45], v[38:39], s[20:21], v[160:161] neg_lo:[0,0,1] neg_hi:[0,0,1]
	v_pk_add_f32 v[0:1], v[162:163], v[0:1]
	v_mov_b32_e32 v213, v45
	v_pk_fma_f32 v[44:45], v[60:61], s[30:31], v[190:191] neg_lo:[0,0,1] neg_hi:[0,0,1]
	v_pk_add_f32 v[0:1], v[212:213], v[0:1]
	v_mov_b32_e32 v217, v45
	;; [unrolled: 3-line block ×3, first 2 shown]
	v_pk_add_f32 v[0:1], v[214:215], v[0:1]
	v_pk_add_f32 v[12:13], v[218:219], v[12:13]
	;; [unrolled: 1-line block ×3, first 2 shown]
	ds_write2_b64 v72, v[12:13], v[0:1] offset0:56 offset1:63
	v_pk_fma_f32 v[0:1], v[48:49], s[22:23], v[240:241] neg_lo:[0,0,1] neg_hi:[0,0,1]
	v_pk_fma_f32 v[12:13], v[208:209], s[16:17], v[250:251] neg_lo:[0,0,1] neg_hi:[0,0,1]
	v_mov_b32_e32 v247, v1
	v_pk_fma_f32 v[0:1], v[188:189], s[30:31], v[248:249] neg_lo:[0,0,1] neg_hi:[0,0,1]
	v_mov_b32_e32 v147, v13
	v_mov_b32_e32 v253, v1
	v_pk_add_f32 v[0:1], v[196:197], v[246:247]
	v_pk_fma_f32 v[12:13], v[32:33], s[56:57], v[254:255] neg_lo:[0,0,1] neg_hi:[0,0,1]
	v_pk_add_f32 v[0:1], v[252:253], v[0:1]
	v_mov_b32_e32 v11, v13
	v_pk_add_f32 v[0:1], v[146:147], v[0:1]
	s_nop 0
	v_pk_add_f32 v[0:1], v[10:11], v[0:1]
	v_pk_fma_f32 v[10:11], v[38:39], s[18:19], v[244:245] neg_lo:[0,0,1] neg_hi:[0,0,1]
	s_nop 0
	v_mov_b32_e32 v9, v11
	v_pk_add_f32 v[0:1], v[8:9], v[0:1]
	v_pk_fma_f32 v[8:9], v[60:61], s[24:25], v[18:19] neg_lo:[0,0,1] neg_hi:[0,0,1]
	s_nop 0
	v_mov_b32_e32 v7, v9
	;; [unrolled: 4-line block ×4, first 2 shown]
	v_pk_add_f32 v[0:1], v[2:3], v[0:1]
	v_pk_fma_f32 v[2:3], v[48:49], s[20:21], v[130:131] neg_lo:[0,0,1] neg_hi:[0,0,1]
	v_pk_fma_f32 v[4:5], v[208:209], s[18:19], v[148:149] neg_lo:[0,0,1] neg_hi:[0,0,1]
	v_mov_b32_e32 v139, v3
	v_pk_fma_f32 v[2:3], v[188:189], s[28:29], v[144:145] neg_lo:[0,0,1] neg_hi:[0,0,1]
	v_mov_b32_e32 v171, v5
	v_mov_b32_e32 v151, v3
	v_pk_add_f32 v[2:3], v[196:197], v[138:139]
	v_pk_fma_f32 v[4:5], v[32:33], s[22:23], v[168:169] neg_lo:[0,0,1] neg_hi:[0,0,1]
	v_pk_add_f32 v[2:3], v[150:151], v[2:3]
	v_mov_b32_e32 v175, v5
	v_pk_add_f32 v[2:3], v[170:171], v[2:3]
	v_pk_fma_f32 v[4:5], v[38:39], s[58:59], v[172:173] neg_lo:[0,0,1] neg_hi:[0,0,1]
	v_pk_add_f32 v[2:3], v[174:175], v[2:3]
	v_mov_b32_e32 v179, v5
	v_pk_fma_f32 v[4:5], v[60:61], s[14:15], v[176:177] neg_lo:[0,0,1] neg_hi:[0,0,1]
	v_pk_add_f32 v[2:3], v[178:179], v[2:3]
	v_mov_b32_e32 v183, v5
	;; [unrolled: 3-line block ×4, first 2 shown]
	v_pk_add_f32 v[2:3], v[242:243], v[2:3]
	ds_write2_b64 v72, v[0:1], v[2:3] offset0:70 offset1:77
	v_pk_fma_f32 v[2:3], v[208:209], s[50:51], v[92:93] neg_lo:[0,0,1] neg_hi:[0,0,1]
	v_pk_fma_f32 v[0:1], v[48:49], s[0:1], v[84:85] neg_lo:[0,0,1] neg_hi:[0,0,1]
	v_mov_b32_e32 v91, v3
	v_pk_fma_f32 v[2:3], v[32:33], s[12:13], v[224:225] neg_lo:[0,0,1] neg_hi:[0,0,1]
	v_mov_b32_e32 v199, v1
	v_mov_b32_e32 v95, v3
	v_pk_fma_f32 v[2:3], v[38:39], s[24:25], v[228:229] neg_lo:[0,0,1] neg_hi:[0,0,1]
	v_pk_fma_f32 v[0:1], v[188:189], s[26:27], v[22:23] neg_lo:[0,0,1] neg_hi:[0,0,1]
	v_mov_b32_e32 v227, v3
	v_pk_fma_f32 v[2:3], v[60:61], s[58:59], v[232:233] neg_lo:[0,0,1] neg_hi:[0,0,1]
	v_mov_b32_e32 v87, v1
	v_mov_b32_e32 v231, v3
	v_pk_fma_f32 v[2:3], v[222:223], s[18:19], v[236:237] neg_lo:[0,0,1] neg_hi:[0,0,1]
	v_pk_add_f32 v[0:1], v[196:197], v[198:199]
	v_mov_b32_e32 v235, v3
	v_pk_fma_f32 v[2:3], v[112:113], s[20:21], v[104:105] neg_lo:[0,0,1] neg_hi:[0,0,1]
	v_pk_fma_f32 v[4:5], v[208:209], s[28:29], v[52:53] neg_lo:[0,0,1] neg_hi:[0,0,1]
	v_mov_b32_e32 v239, v3
	v_pk_fma_f32 v[2:3], v[48:49], s[16:17], v[40:41] neg_lo:[0,0,1] neg_hi:[0,0,1]
	v_pk_add_f32 v[0:1], v[86:87], v[0:1]
	v_mov_b32_e32 v37, v3
	v_pk_fma_f32 v[2:3], v[188:189], s[24:25], v[30:31] neg_lo:[0,0,1] neg_hi:[0,0,1]
	v_mov_b32_e32 v47, v5
	v_mov_b32_e32 v43, v3
	v_pk_add_f32 v[2:3], v[196:197], v[36:37]
	v_pk_fma_f32 v[4:5], v[32:33], s[34:35], v[164:165] neg_lo:[0,0,1] neg_hi:[0,0,1]
	v_pk_add_f32 v[2:3], v[42:43], v[2:3]
	v_pk_add_f32 v[0:1], v[90:91], v[0:1]
	;; [unrolled: 1-line block ×3, first 2 shown]
	v_mov_b32_e32 v55, v5
	v_pk_fma_f32 v[4:5], v[38:39], s[12:13], v[56:57] neg_lo:[0,0,1] neg_hi:[0,0,1]
	v_pk_add_f32 v[0:1], v[94:95], v[0:1]
	v_pk_add_f32 v[2:3], v[54:55], v[2:3]
	v_mov_b32_e32 v167, v5
	v_pk_fma_f32 v[4:5], v[60:61], s[22:23], v[80:81] neg_lo:[0,0,1] neg_hi:[0,0,1]
	v_pk_add_f32 v[0:1], v[226:227], v[0:1]
	v_pk_add_f32 v[2:3], v[166:167], v[2:3]
	;; [unrolled: 4-line block ×4, first 2 shown]
	v_mov_b32_e32 v195, v5
	v_pk_add_f32 v[0:1], v[238:239], v[0:1]
	v_pk_add_f32 v[2:3], v[194:195], v[2:3]
	v_accvgpr_read_b32 v4, a62
	ds_write2_b64 v72, v[0:1], v[2:3] offset0:84 offset1:91
	v_pk_fma_f32 v[2:3], v[208:209], s[48:49], v[116:117] neg_lo:[0,0,1] neg_hi:[0,0,1]
	v_accvgpr_read_b32 v5, a63
	v_mov_b32_e32 v63, v3
	v_pk_fma_f32 v[2:3], v[32:33], s[28:29], v[110:111] neg_lo:[0,0,1] neg_hi:[0,0,1]
	v_pk_fma_f32 v[4:5], v[208:209], s[20:21], v[4:5] neg_lo:[0,0,1] neg_hi:[0,0,1]
	v_mov_b32_e32 v21, v3
	v_pk_fma_f32 v[2:3], v[38:39], s[50:51], v[106:107] neg_lo:[0,0,1] neg_hi:[0,0,1]
	v_mov_b32_e32 v125, v5
	v_accvgpr_read_b32 v4, a64
	v_mov_b32_e32 v25, v3
	v_pk_fma_f32 v[2:3], v[60:61], s[18:19], v[102:103] neg_lo:[0,0,1] neg_hi:[0,0,1]
	v_accvgpr_read_b32 v5, a65
	v_mov_b32_e32 v29, v3
	v_pk_fma_f32 v[2:3], v[222:223], s[16:17], v[126:127] neg_lo:[0,0,1] neg_hi:[0,0,1]
	v_pk_fma_f32 v[4:5], v[32:33], s[24:25], v[4:5] neg_lo:[0,0,1] neg_hi:[0,0,1]
	v_mov_b32_e32 v99, v3
	v_pk_fma_f32 v[2:3], v[112:113], s[22:23], v[142:143] neg_lo:[0,0,1] neg_hi:[0,0,1]
	v_mov_b32_e32 v141, v5
	;; [unrolled: 2-line block ×3, first 2 shown]
	v_accvgpr_read_b32 v2, a30
	v_mov_b32_e32 v121, v5
	v_pk_fma_f32 v[4:5], v[60:61], s[28:29], v[132:133] neg_lo:[0,0,1] neg_hi:[0,0,1]
	v_accvgpr_read_b32 v3, a31
	v_mov_b32_e32 v123, v5
	v_pk_fma_f32 v[4:5], v[222:223], s[30:31], v[202:203] neg_lo:[0,0,1] neg_hi:[0,0,1]
	v_pk_fma_f32 v[2:3], v[48:49], s[14:15], v[2:3] neg_lo:[0,0,1] neg_hi:[0,0,1]
	v_mov_b32_e32 v201, v5
	v_pk_fma_f32 v[4:5], v[112:113], s[34:35], v[206:207] neg_lo:[0,0,1] neg_hi:[0,0,1]
	v_mov_b32_e32 v71, v3
	v_accvgpr_read_b32 v2, a60
	v_mov_b32_e32 v205, v5
	v_accvgpr_read_b32 v4, a14
	v_pk_fma_f32 v[0:1], v[48:49], s[12:13], v[128:129] neg_lo:[0,0,1] neg_hi:[0,0,1]
	v_accvgpr_read_b32 v3, a61
	v_accvgpr_read_b32 v5, a15
	v_mov_b32_e32 v67, v1
	v_pk_fma_f32 v[0:1], v[188:189], s[20:21], v[118:119] neg_lo:[0,0,1] neg_hi:[0,0,1]
	v_pk_fma_f32 v[2:3], v[188:189], s[16:17], v[2:3] neg_lo:[0,0,1] neg_hi:[0,0,1]
	;; [unrolled: 1-line block ×3, first 2 shown]
	v_mov_b32_e32 v65, v1
	v_pk_add_f32 v[0:1], v[196:197], v[66:67]
	v_mov_b32_e32 v69, v3
	v_pk_add_f32 v[2:3], v[196:197], v[70:71]
	v_mov_b32_e32 v101, v5
	v_accvgpr_read_b32 v4, a18
	v_pk_add_f32 v[0:1], v[64:65], v[0:1]
	v_pk_add_f32 v[2:3], v[68:69], v[2:3]
	v_accvgpr_read_b32 v5, a19
	v_pk_add_f32 v[0:1], v[62:63], v[0:1]
	v_pk_add_f32 v[2:3], v[124:125], v[2:3]
	v_pk_fma_f32 v[4:5], v[208:209], s[12:13], v[4:5] neg_lo:[0,0,1] neg_hi:[0,0,1]
	v_pk_add_f32 v[0:1], v[20:21], v[0:1]
	v_pk_add_f32 v[2:3], v[140:141], v[2:3]
	v_mov_b32_e32 v89, v5
	v_accvgpr_read_b32 v4, a20
	v_pk_add_f32 v[0:1], v[24:25], v[0:1]
	v_pk_add_f32 v[2:3], v[120:121], v[2:3]
	v_accvgpr_read_b32 v5, a21
	v_pk_add_f32 v[0:1], v[28:29], v[0:1]
	v_pk_add_f32 v[2:3], v[122:123], v[2:3]
	v_pk_fma_f32 v[4:5], v[32:33], s[16:17], v[4:5] neg_lo:[0,0,1] neg_hi:[0,0,1]
	v_pk_add_f32 v[0:1], v[98:99], v[0:1]
	v_pk_add_f32 v[2:3], v[200:201], v[2:3]
	v_mov_b32_e32 v75, v5
	v_accvgpr_read_b32 v4, a50
	v_pk_add_f32 v[0:1], v[134:135], v[0:1]
	v_pk_add_f32 v[2:3], v[204:205], v[2:3]
	v_accvgpr_read_b32 v5, a51
	ds_write2_b64 v72, v[0:1], v[2:3] offset0:98 offset1:105
	v_accvgpr_read_b32 v0, a26
	v_pk_fma_f32 v[4:5], v[38:39], s[0:1], v[4:5] neg_lo:[0,0,1] neg_hi:[0,0,1]
	v_accvgpr_read_b32 v1, a27
	v_mov_b32_e32 v79, v5
	v_accvgpr_read_b32 v4, a54
	v_pk_fma_f32 v[0:1], v[48:49], s[18:19], v[0:1] neg_lo:[0,0,1] neg_hi:[0,0,1]
	v_accvgpr_read_b32 v5, a55
	v_mov_b32_e32 v77, v1
	v_pk_fma_f32 v[4:5], v[60:61], s[20:21], v[4:5] neg_lo:[0,0,1] neg_hi:[0,0,1]
	v_pk_add_f32 v[2:3], v[196:197], v[76:77]
	v_mov_b32_e32 v97, v5
	v_accvgpr_read_b32 v4, a56
	v_pk_add_f32 v[2:3], v[100:101], v[2:3]
	v_accvgpr_read_b32 v5, a57
	v_pk_add_f32 v[2:3], v[88:89], v[2:3]
	v_pk_fma_f32 v[4:5], v[222:223], s[22:23], v[4:5] neg_lo:[0,0,1] neg_hi:[0,0,1]
	v_pk_add_f32 v[2:3], v[74:75], v[2:3]
	v_mov_b32_e32 v109, v5
	v_accvgpr_read_b32 v4, a58
	v_pk_add_f32 v[2:3], v[78:79], v[2:3]
	v_accvgpr_read_b32 v5, a59
	v_accvgpr_read_b32 v144, a234
	;; [unrolled: 1-line block ×9, first 2 shown]
	v_pk_add_f32 v[2:3], v[96:97], v[2:3]
	v_pk_fma_f32 v[4:5], v[112:113], s[24:25], v[4:5] neg_lo:[0,0,1] neg_hi:[0,0,1]
	v_accvgpr_read_b32 v145, a235
	v_accvgpr_read_b32 v137, a231
	;; [unrolled: 1-line block ×8, first 2 shown]
	v_pk_add_f32 v[2:3], v[108:109], v[2:3]
	v_mov_b32_e32 v115, v5
	v_accvgpr_read_b32 v146, a236
	v_accvgpr_read_b32 v138, a232
	;; [unrolled: 1-line block ×8, first 2 shown]
	v_mov_b32_e32 v50, v181
	v_mov_b32_e32 v92, v177
	;; [unrolled: 1-line block ×8, first 2 shown]
	v_pk_add_f32 v[2:3], v[114:115], v[2:3]
	ds_write_b64 v72, v[2:3] offset:896
	s_and_saveexec_b64 s[0:1], vcc
	s_cbranch_execz .LBB0_5
; %bb.4:
	v_accvgpr_read_b32 v2, a10
	v_accvgpr_read_b32 v4, a4
	v_accvgpr_read_b32 v3, a11
	v_accvgpr_read_b32 v5, a5
	v_pk_add_f32 v[2:3], v[2:3], v[4:5]
	v_accvgpr_read_b32 v4, a12
	v_accvgpr_read_b32 v5, a13
	v_pk_add_f32 v[2:3], v[2:3], v[4:5]
	v_accvgpr_read_b32 v4, a32
	v_accvgpr_read_b32 v5, a33
	v_pk_add_f32 v[2:3], v[2:3], v[4:5]
	v_accvgpr_read_b32 v4, a36
	v_accvgpr_read_b32 v5, a37
	v_pk_add_f32 v[2:3], v[2:3], v[4:5]
	v_accvgpr_read_b32 v4, a40
	v_accvgpr_read_b32 v5, a41
	v_pk_add_f32 v[2:3], v[2:3], v[4:5]
	v_accvgpr_read_b32 v4, a42
	v_accvgpr_read_b32 v5, a43
	v_pk_add_f32 v[2:3], v[2:3], v[4:5]
	v_accvgpr_read_b32 v4, a46
	v_accvgpr_read_b32 v5, a47
	v_pk_add_f32 v[2:3], v[2:3], v[4:5]
	v_accvgpr_read_b32 v4, a52
	v_accvgpr_read_b32 v5, a53
	v_pk_add_f32 v[2:3], v[2:3], v[4:5]
	v_accvgpr_read_b32 v4, a68
	v_accvgpr_read_b32 v5, a69
	v_pk_add_f32 v[2:3], v[2:3], v[4:5]
	v_accvgpr_read_b32 v4, a196
	v_accvgpr_read_b32 v5, a197
	v_pk_add_f32 v[2:3], v[2:3], v[4:5]
	v_accvgpr_read_b32 v4, a198
	v_accvgpr_read_b32 v5, a199
	v_pk_add_f32 v[2:3], v[2:3], v[4:5]
	v_accvgpr_read_b32 v4, a200
	v_accvgpr_read_b32 v5, a201
	v_pk_add_f32 v[2:3], v[2:3], v[4:5]
	v_accvgpr_read_b32 v4, a202
	v_accvgpr_read_b32 v5, a203
	v_pk_add_f32 v[2:3], v[2:3], v[4:5]
	v_accvgpr_read_b32 v4, a204
	v_accvgpr_read_b32 v5, a205
	v_pk_add_f32 v[2:3], v[2:3], v[4:5]
	v_accvgpr_read_b32 v4, a16
	v_accvgpr_read_b32 v1, a25
	v_accvgpr_read_b32 v5, a17
	v_and_b32_e32 v1, 0xff, v1
	v_pk_add_f32 v[2:3], v[2:3], v[4:5]
	v_accvgpr_read_b32 v4, a22
	s_waitcnt vmcnt(0)
	v_lshl_add_u32 v1, v1, 3, v35
	v_accvgpr_read_b32 v5, a23
	v_accvgpr_read_b32 v6, a108
	;; [unrolled: 1-line block ×3, first 2 shown]
	v_pk_add_f32 v[2:3], v[2:3], v[4:5]
	v_add_u32_e32 v4, 0x800, v1
	v_accvgpr_read_b32 v7, a109
	v_accvgpr_read_b32 v8, a110
	;; [unrolled: 1-line block ×4, first 2 shown]
	ds_write2_b64 v4, v[2:3], v[6:7] offset0:220 offset1:227
	ds_write2_b64 v4, v[8:9], v[10:11] offset0:234 offset1:241
	v_accvgpr_read_b32 v6, a140
	v_accvgpr_read_b32 v12, a126
	;; [unrolled: 1-line block ×4, first 2 shown]
	ds_write2_b64 v4, v[12:13], v[6:7] offset0:248 offset1:255
	v_accvgpr_read_b32 v4, a148
	v_accvgpr_read_b32 v10, a152
	;; [unrolled: 1-line block ×4, first 2 shown]
	v_add_u32_e32 v2, 0x1000, v1
	v_accvgpr_read_b32 v5, a149
	v_accvgpr_read_b32 v6, a150
	;; [unrolled: 1-line block ×4, first 2 shown]
	ds_write2_b64 v2, v[8:9], v[4:5] offset0:6 offset1:13
	ds_write2_b64 v2, v[6:7], v[10:11] offset0:20 offset1:27
	v_accvgpr_read_b32 v8, a144
	v_accvgpr_read_b32 v12, a154
	v_accvgpr_read_b32 v13, a155
	v_accvgpr_read_b32 v9, a145
	ds_write2_b64 v2, v[12:13], v[8:9] offset0:34 offset1:41
	v_accvgpr_read_b32 v6, a136
	v_accvgpr_read_b32 v10, a146
	v_accvgpr_read_b32 v11, a147
	v_accvgpr_read_b32 v7, a137
	;; [unrolled: 5-line block ×3, first 2 shown]
	v_accvgpr_read_b32 v6, a114
	v_accvgpr_read_b32 v7, a115
	ds_write2_b64 v2, v[8:9], v[4:5] offset0:62 offset1:69
	ds_write_b64 v1, v[6:7] offset:4704
.LBB0_5:
	s_or_b64 exec, exec, s[0:1]
	v_accvgpr_read_b32 v68, a24
	v_accvgpr_read_b32 v2, a8
	v_lshlrev_b32_e32 v1, 5, v68
	v_lshlrev_b32_e32 v2, 5, v2
	s_waitcnt lgkmcnt(0)
	; wave barrier
	s_waitcnt lgkmcnt(0)
	global_load_dwordx4 v[160:163], v1, s[10:11] offset:912
	global_load_dwordx4 v[164:167], v1, s[10:11] offset:896
	;; [unrolled: 1-line block ×4, first 2 shown]
	v_accvgpr_read_b32 v2, a6
	v_lshlrev_b32_e32 v2, 5, v2
	global_load_dwordx4 v[140:143], v2, s[10:11] offset:912
	global_load_dwordx4 v[148:151], v2, s[10:11] offset:896
	v_accvgpr_read_b32 v2, a2
	v_lshlrev_b32_e32 v2, 5, v2
	global_load_dwordx4 v[124:127], v2, s[10:11] offset:912
	global_load_dwordx4 v[132:135], v2, s[10:11] offset:896
	;; [unrolled: 4-line block ×3, first 2 shown]
	v_add_u32_e32 v2, 0xaa0, v1
	global_load_dwordx4 v[98:101], v2, s[10:11] offset:912
	global_load_dwordx4 v[106:109], v2, s[10:11] offset:896
	v_add_u32_e32 v1, 0xcc0, v1
	global_load_dwordx4 v[94:97], v1, s[10:11] offset:912
	global_load_dwordx4 v[102:105], v1, s[10:11] offset:896
	v_accvgpr_read_b32 v114, a181
	ds_read2_b64 v[188:191], v114 offset1:17
	ds_read2_b64 v[184:187], v114 offset0:102 offset1:119
	ds_read2_b64 v[4:7], v114 offset0:238 offset1:255
	;; [unrolled: 1-line block ×3, first 2 shown]
	v_add_u32_e32 v58, 0x800, v114
	v_add_u32_e32 v1, 0xc00, v114
	ds_read2_b64 v[20:23], v58 offset0:84 offset1:101
	ds_read2_b64 v[12:15], v58 offset0:220 offset1:237
	;; [unrolled: 1-line block ×5, first 2 shown]
	v_add_u32_e32 v59, 0x1000, v114
	ds_read2_b64 v[74:77], v58 offset0:186 offset1:203
	s_mov_b32 s0, 0x3f737871
	s_mov_b32 s12, 0x3f167918
	;; [unrolled: 1-line block ×3, first 2 shown]
	s_waitcnt vmcnt(14)
	v_accvgpr_write_b32 a185, v35
	v_lshl_add_u32 v35, v68, 3, v35
	s_add_u32 s8, s8, 0x1298
	s_addc_u32 s9, s9, 0
	s_mov_b32 s20, 0x3f3bfb3b
	s_mov_b32 s18, 0xbf5ff5aa
	v_mov_b32_e32 v253, v252
	v_accvgpr_write_b32 a68, v252
	v_mov_b32_e32 v251, v250
	v_accvgpr_write_b32 a4, v250
	;; [unrolled: 2-line block ×3, first 2 shown]
	v_accvgpr_write_b32 a69, v253
	v_accvgpr_write_b32 a5, v251
	;; [unrolled: 1-line block ×3, first 2 shown]
	v_mov_b32_e32 v147, v146
	v_mov_b32_e32 v139, v138
	;; [unrolled: 1-line block ×5, first 2 shown]
	v_accvgpr_write_b32 a223, v147
	v_mov_b32_e32 v137, v136
	v_mov_b32_e32 v129, v128
	;; [unrolled: 1-line block ×3, first 2 shown]
	v_accvgpr_write_b32 a36, v248
	v_accvgpr_write_b32 a207, v131
	v_mov_b32_e32 v121, v120
	v_accvgpr_write_b32 a199, v123
	v_accvgpr_write_b32 a183, v35
	v_mov_b32_e32 v169, v168
	v_mov_b32_e32 v171, v170
	;; [unrolled: 1-line block ×7, first 2 shown]
	v_accvgpr_read_b32 v69, a180
	v_mov_b32_e32 v181, v180
	v_mov_b32_e32 v51, v50
	;; [unrolled: 1-line block ×3, first 2 shown]
	v_accvgpr_mov_b32 a131, a130
	v_accvgpr_mov_b32 a2, a186
	;; [unrolled: 1-line block ×3, first 2 shown]
	v_accvgpr_write_b32 a222, v146
	v_accvgpr_write_b32 a221, v145
	;; [unrolled: 1-line block ×3, first 2 shown]
	v_accvgpr_mov_b32 a46, a188
	v_accvgpr_mov_b32 a47, a188
	;; [unrolled: 1-line block ×4, first 2 shown]
	v_accvgpr_write_b32 a37, v249
	v_accvgpr_write_b32 a206, v130
	;; [unrolled: 1-line block ×3, first 2 shown]
	s_waitcnt vmcnt(13)
	v_mov_b32_e32 v44, v163
	s_waitcnt vmcnt(12)
	v_mov_b32_e32 v48, v167
	s_waitcnt lgkmcnt(5)
	v_pk_mul_f32 v[28:29], v[22:23], v[160:161] op_sel:[0,1]
	v_pk_mul_f32 v[2:3], v[186:187], v[164:165] op_sel:[0,1]
	v_pk_mul_f32 v[48:49], v[4:5], v[48:49] op_sel_hi:[1,0]
	s_waitcnt vmcnt(8)
	v_mov_b32_e32 v52, v151
	v_pk_mul_f32 v[40:41], v[10:11], v[148:149] op_sel:[0,1]
	v_pk_fma_f32 v[56:57], v[22:23], v[160:161], v[28:29] op_sel:[0,0,1] op_sel_hi:[1,1,0] neg_lo:[0,0,1] neg_hi:[0,0,1]
	v_pk_fma_f32 v[22:23], v[22:23], v[160:161], v[28:29] op_sel:[0,0,1] op_sel_hi:[1,0,0]
	s_waitcnt lgkmcnt(4)
	v_pk_mul_f32 v[28:29], v[12:13], v[44:45] op_sel_hi:[1,0]
	v_pk_fma_f32 v[54:55], v[186:187], v[164:165], v[2:3] op_sel:[0,0,1] op_sel_hi:[1,1,0] neg_lo:[0,0,1] neg_hi:[0,0,1]
	v_pk_fma_f32 v[46:47], v[186:187], v[164:165], v[2:3] op_sel:[0,0,1] op_sel_hi:[1,0,0]
	v_pk_fma_f32 v[2:3], v[10:11], v[148:149], v[40:41] op_sel:[0,0,1] op_sel_hi:[1,1,0] neg_lo:[0,0,1] neg_hi:[0,0,1]
	v_pk_fma_f32 v[10:11], v[10:11], v[148:149], v[40:41] op_sel:[0,0,1] op_sel_hi:[1,0,0]
	s_waitcnt lgkmcnt(2)
	v_pk_mul_f32 v[40:41], v[24:25], v[52:53] op_sel_hi:[1,0]
	v_pk_fma_f32 v[78:79], v[4:5], v[166:167], v[48:49] op_sel:[0,0,1] op_sel_hi:[1,1,0] neg_lo:[0,0,1] neg_hi:[0,0,1]
	v_pk_fma_f32 v[4:5], v[4:5], v[166:167], v[48:49] op_sel:[0,0,1] op_sel_hi:[1,0,0]
	v_pk_fma_f32 v[80:81], v[12:13], v[162:163], v[28:29] op_sel:[0,0,1] op_sel_hi:[1,1,0] neg_lo:[0,0,1] neg_hi:[0,0,1]
	v_pk_fma_f32 v[12:13], v[12:13], v[162:163], v[28:29] op_sel:[0,0,1] op_sel_hi:[1,0,0]
	v_mov_b32_e32 v42, v159
	v_pk_mul_f32 v[36:37], v[8:9], v[156:157] op_sel:[0,1]
	v_mov_b32_e32 v3, v11
	v_mov_b32_e32 v79, v5
	;; [unrolled: 1-line block ×3, first 2 shown]
	v_pk_fma_f32 v[28:29], v[24:25], v[150:151], v[40:41] op_sel:[0,0,1] op_sel_hi:[1,1,0] neg_lo:[0,0,1] neg_hi:[0,0,1]
	v_pk_fma_f32 v[4:5], v[24:25], v[150:151], v[40:41] op_sel:[0,0,1] op_sel_hi:[1,0,0]
	ds_read2_b64 v[10:13], v114 offset0:170 offset1:187
	v_pk_fma_f32 v[44:45], v[8:9], v[156:157], v[36:37] op_sel:[0,0,1] op_sel_hi:[1,1,0] neg_lo:[0,0,1] neg_hi:[0,0,1]
	v_pk_fma_f32 v[8:9], v[8:9], v[156:157], v[36:37] op_sel:[0,0,1] op_sel_hi:[1,0,0]
	v_pk_mul_f32 v[36:37], v[6:7], v[42:43] op_sel_hi:[1,0]
	v_mov_b32_e32 v29, v5
	v_pk_mul_f32 v[4:5], v[18:19], v[140:141] op_sel:[0,1]
	v_mov_b32_e32 v66, v155
	v_mov_b32_e32 v64, v143
	v_pk_mul_f32 v[38:39], v[16:17], v[152:153] op_sel:[0,1]
	v_pk_fma_f32 v[52:53], v[6:7], v[158:159], v[36:37] op_sel:[0,0,1] op_sel_hi:[1,1,0] neg_lo:[0,0,1] neg_hi:[0,0,1]
	v_pk_fma_f32 v[6:7], v[6:7], v[158:159], v[36:37] op_sel:[0,0,1] op_sel_hi:[1,0,0]
	v_pk_fma_f32 v[36:37], v[18:19], v[140:141], v[4:5] op_sel:[0,0,1] op_sel_hi:[1,1,0] neg_lo:[0,0,1] neg_hi:[0,0,1]
	v_pk_fma_f32 v[4:5], v[18:19], v[140:141], v[4:5] op_sel:[0,0,1] op_sel_hi:[1,0,0]
	;; [unrolled: 2-line block ×3, first 2 shown]
	v_pk_mul_f32 v[38:39], v[14:15], v[66:67] op_sel_hi:[1,0]
	v_mov_b32_e32 v37, v5
	s_waitcnt lgkmcnt(2)
	v_pk_mul_f32 v[4:5], v[30:31], v[64:65] op_sel_hi:[1,0]
	v_mov_b32_e32 v55, v47
	v_mov_b32_e32 v45, v9
	v_pk_fma_f32 v[48:49], v[14:15], v[154:155], v[38:39] op_sel:[0,0,1] op_sel_hi:[1,1,0] neg_lo:[0,0,1] neg_hi:[0,0,1]
	v_pk_fma_f32 v[8:9], v[14:15], v[154:155], v[38:39] op_sel:[0,0,1] op_sel_hi:[1,0,0]
	v_pk_fma_f32 v[46:47], v[30:31], v[142:143], v[4:5] op_sel:[0,0,1] op_sel_hi:[1,1,0] neg_lo:[0,0,1] neg_hi:[0,0,1]
	v_pk_fma_f32 v[4:5], v[30:31], v[142:143], v[4:5] op_sel:[0,0,1] op_sel_hi:[1,0,0]
	ds_read2_b64 v[38:41], v58 offset0:152 offset1:169
	v_mov_b32_e32 v47, v5
	s_waitcnt vmcnt(6) lgkmcnt(1)
	v_pk_mul_f32 v[4:5], v[10:11], v[132:133] op_sel:[0,1]
	v_mov_b32_e32 v62, v135
	v_mov_b32_e32 v49, v9
	v_pk_fma_f32 v[8:9], v[10:11], v[132:133], v[4:5] op_sel:[0,0,1] op_sel_hi:[1,1,0] neg_lo:[0,0,1] neg_hi:[0,0,1]
	v_pk_fma_f32 v[4:5], v[10:11], v[132:133], v[4:5] op_sel:[0,0,1] op_sel_hi:[1,0,0]
	v_mov_b32_e32 v60, v127
	v_mov_b32_e32 v9, v5
	v_pk_mul_f32 v[4:5], v[26:27], v[62:63] op_sel_hi:[1,0]
	s_waitcnt vmcnt(4)
	v_mov_b32_e32 v72, v119
	v_pk_fma_f32 v[18:19], v[26:27], v[134:135], v[4:5] op_sel:[0,0,1] op_sel_hi:[1,1,0] neg_lo:[0,0,1] neg_hi:[0,0,1]
	v_pk_fma_f32 v[4:5], v[26:27], v[134:135], v[4:5] op_sel:[0,0,1] op_sel_hi:[1,0,0]
	v_mov_b32_e32 v53, v7
	v_mov_b32_e32 v19, v5
	s_waitcnt lgkmcnt(0)
	v_pk_mul_f32 v[4:5], v[38:39], v[124:125] op_sel:[0,1]
	ds_read2_b64 v[64:67], v59 offset0:32 offset1:49
	v_pk_fma_f32 v[24:25], v[38:39], v[124:125], v[4:5] op_sel:[0,0,1] op_sel_hi:[1,1,0] neg_lo:[0,0,1] neg_hi:[0,0,1]
	v_pk_fma_f32 v[4:5], v[38:39], v[124:125], v[4:5] op_sel:[0,0,1] op_sel_hi:[1,0,0]
	v_mov_b32_e32 v43, v17
	v_mov_b32_e32 v25, v5
	v_pk_mul_f32 v[4:5], v[32:33], v[60:61] op_sel_hi:[1,0]
	ds_read2_b64 v[60:63], v58 offset0:50 offset1:67
	v_pk_fma_f32 v[30:31], v[32:33], v[126:127], v[4:5] op_sel:[0,0,1] op_sel_hi:[1,1,0] neg_lo:[0,0,1] neg_hi:[0,0,1]
	v_pk_fma_f32 v[4:5], v[32:33], v[126:127], v[4:5] op_sel:[0,0,1] op_sel_hi:[1,0,0]
	v_mov_b32_e32 v70, v113
	v_mov_b32_e32 v31, v5
	v_pk_mul_f32 v[4:5], v[12:13], v[116:117] op_sel:[0,1]
	v_mov_b32_e32 v57, v23
	v_pk_fma_f32 v[6:7], v[12:13], v[116:117], v[4:5] op_sel:[0,0,1] op_sel_hi:[1,1,0] neg_lo:[0,0,1] neg_hi:[0,0,1]
	v_pk_fma_f32 v[4:5], v[12:13], v[116:117], v[4:5] op_sel:[0,0,1] op_sel_hi:[1,0,0]
	s_waitcnt vmcnt(2)
	v_mov_b32_e32 v88, v109
	v_mov_b32_e32 v7, v5
	s_waitcnt lgkmcnt(0)
	v_pk_mul_f32 v[4:5], v[60:61], v[72:73] op_sel_hi:[1,0]
	v_mov_b32_e32 v86, v101
	v_pk_fma_f32 v[16:17], v[60:61], v[118:119], v[4:5] op_sel:[0,0,1] op_sel_hi:[1,1,0] neg_lo:[0,0,1] neg_hi:[0,0,1]
	v_pk_fma_f32 v[4:5], v[60:61], v[118:119], v[4:5] op_sel:[0,0,1] op_sel_hi:[1,0,0]
	ds_read_b64 v[60:61], v114 offset:4624
	v_mov_b32_e32 v17, v5
	v_pk_mul_f32 v[4:5], v[40:41], v[110:111] op_sel:[0,1]
	s_waitcnt vmcnt(0)
	v_mov_b32_e32 v84, v105
	v_pk_fma_f32 v[22:23], v[40:41], v[110:111], v[4:5] op_sel:[0,0,1] op_sel_hi:[1,1,0] neg_lo:[0,0,1] neg_hi:[0,0,1]
	v_pk_fma_f32 v[4:5], v[40:41], v[110:111], v[4:5] op_sel:[0,0,1] op_sel_hi:[1,0,0]
	v_pk_mul_f32 v[26:27], v[20:21], v[84:85] op_sel_hi:[1,0]
	v_mov_b32_e32 v23, v5
	v_pk_mul_f32 v[4:5], v[64:65], v[70:71] op_sel_hi:[1,0]
	ds_read2_b64 v[70:73], v114 offset0:204 offset1:221
	v_pk_fma_f32 v[40:41], v[64:65], v[112:113], v[4:5] op_sel:[0,0,1] op_sel_hi:[1,1,0] neg_lo:[0,0,1] neg_hi:[0,0,1]
	v_pk_fma_f32 v[4:5], v[64:65], v[112:113], v[4:5] op_sel:[0,0,1] op_sel_hi:[1,0,0]
	v_mov_b32_e32 v82, v97
	v_mov_b32_e32 v41, v5
	s_waitcnt lgkmcnt(0)
	v_pk_mul_f32 v[12:13], v[70:71], v[106:107] op_sel:[0,1]
	v_pk_mul_f32 v[4:5], v[62:63], v[88:89] op_sel_hi:[1,0]
	v_pk_fma_f32 v[14:15], v[70:71], v[106:107], v[12:13] op_sel:[0,0,1] op_sel_hi:[1,1,0] neg_lo:[0,0,1] neg_hi:[0,0,1]
	v_pk_fma_f32 v[12:13], v[70:71], v[106:107], v[12:13] op_sel:[0,0,1] op_sel_hi:[1,0,0]
	v_pk_fma_f32 v[10:11], v[62:63], v[108:109], v[4:5] op_sel:[0,0,1] op_sel_hi:[1,1,0] neg_lo:[0,0,1] neg_hi:[0,0,1]
	v_pk_fma_f32 v[4:5], v[62:63], v[108:109], v[4:5] op_sel:[0,0,1] op_sel_hi:[1,0,0]
	v_mov_b32_e32 v15, v13
	v_pk_mul_f32 v[12:13], v[74:75], v[98:99] op_sel:[0,1]
	v_mov_b32_e32 v11, v5
	v_pk_mul_f32 v[4:5], v[66:67], v[86:87] op_sel_hi:[1,0]
	v_pk_fma_f32 v[38:39], v[74:75], v[98:99], v[12:13] op_sel:[0,0,1] op_sel_hi:[1,1,0] neg_lo:[0,0,1] neg_hi:[0,0,1]
	v_pk_fma_f32 v[12:13], v[74:75], v[98:99], v[12:13] op_sel:[0,0,1] op_sel_hi:[1,0,0]
	v_pk_fma_f32 v[32:33], v[66:67], v[100:101], v[4:5] op_sel:[0,0,1] op_sel_hi:[1,1,0] neg_lo:[0,0,1] neg_hi:[0,0,1]
	v_pk_fma_f32 v[4:5], v[66:67], v[100:101], v[4:5] op_sel:[0,0,1] op_sel_hi:[1,0,0]
	v_mov_b32_e32 v39, v13
	v_pk_mul_f32 v[12:13], v[72:73], v[102:103] op_sel:[0,1]
	v_mov_b32_e32 v33, v5
	v_pk_fma_f32 v[4:5], v[72:73], v[102:103], v[12:13] op_sel:[0,0,1] op_sel_hi:[1,1,0] neg_lo:[0,0,1] neg_hi:[0,0,1]
	v_pk_fma_f32 v[12:13], v[72:73], v[102:103], v[12:13] op_sel:[0,0,1] op_sel_hi:[1,0,0]
	v_pk_mul_f32 v[62:63], v[60:61], v[82:83] op_sel_hi:[1,0]
	v_mov_b32_e32 v5, v13
	v_pk_fma_f32 v[12:13], v[20:21], v[104:105], v[26:27] op_sel:[0,0,1] op_sel_hi:[1,1,0] neg_lo:[0,0,1] neg_hi:[0,0,1]
	v_pk_fma_f32 v[20:21], v[20:21], v[104:105], v[26:27] op_sel:[0,0,1] op_sel_hi:[1,0,0]
	v_pk_mul_f32 v[26:27], v[76:77], v[94:95] op_sel:[0,1]
	v_mov_b32_e32 v13, v21
	v_pk_fma_f32 v[20:21], v[76:77], v[94:95], v[26:27] op_sel:[0,0,1] op_sel_hi:[1,1,0] neg_lo:[0,0,1] neg_hi:[0,0,1]
	v_pk_fma_f32 v[26:27], v[76:77], v[94:95], v[26:27] op_sel:[0,0,1] op_sel_hi:[1,0,0]
	v_pk_add_f32 v[64:65], v[54:55], v[80:81] neg_lo:[0,1] neg_hi:[0,1]
	v_mov_b32_e32 v21, v27
	v_pk_fma_f32 v[26:27], v[60:61], v[96:97], v[62:63] op_sel:[0,0,1] op_sel_hi:[1,1,0] neg_lo:[0,0,1] neg_hi:[0,0,1]
	v_pk_fma_f32 v[60:61], v[60:61], v[96:97], v[62:63] op_sel:[0,0,1] op_sel_hi:[1,0,0]
	v_pk_add_f32 v[62:63], v[54:55], v[78:79] neg_lo:[0,1] neg_hi:[0,1]
	v_mov_b32_e32 v27, v61
	v_pk_add_f32 v[60:61], v[78:79], v[56:57]
	v_pk_add_f32 v[66:67], v[80:81], v[56:57] neg_lo:[0,1] neg_hi:[0,1]
	v_pk_fma_f32 v[60:61], v[60:61], 0.5, v[188:189] op_sel_hi:[1,0,1] neg_lo:[1,0,0] neg_hi:[1,0,0]
	v_pk_add_f32 v[66:67], v[62:63], v[66:67]
	v_pk_mul_f32 v[62:63], v[64:65], s[0:1] op_sel_hi:[1,0]
	v_pk_add_f32 v[72:73], v[78:79], v[56:57] neg_lo:[0,1] neg_hi:[0,1]
	v_pk_add_f32 v[70:71], v[60:61], v[62:63] op_sel:[0,1] op_sel_hi:[1,0]
	v_pk_add_f32 v[60:61], v[60:61], v[62:63] op_sel:[0,1] op_sel_hi:[1,0] neg_lo:[0,1] neg_hi:[0,1]
	v_pk_mul_f32 v[62:63], v[72:73], s[12:13] op_sel_hi:[1,0]
	v_pk_mul_f32 v[72:73], v[72:73], s[0:1] op_sel_hi:[1,0]
	v_pk_add_f32 v[74:75], v[60:61], v[62:63] op_sel:[0,1] op_sel_hi:[1,0] neg_lo:[0,1] neg_hi:[0,1]
	v_pk_add_f32 v[70:71], v[70:71], v[62:63] op_sel:[0,1] op_sel_hi:[1,0]
	v_mov_b32_e32 v61, v75
	v_mov_b32_e32 v60, v70
	v_pk_fma_f32 v[76:77], v[66:67], s[10:11], v[60:61] op_sel_hi:[1,0,1]
	ds_read2_b64 v[60:63], v114 offset0:34 offset1:51
	ds_read2_b64 v[192:195], v114 offset0:68 offset1:85
	ds_write_b64 v35, v[76:77] offset:952
	v_pk_add_f32 v[76:77], v[188:189], v[54:55]
	v_pk_mul_f32 v[64:65], v[64:65], s[12:13] op_sel_hi:[1,0]
	v_pk_add_f32 v[76:77], v[76:77], v[78:79]
	v_pk_add_f32 v[78:79], v[78:79], v[54:55] neg_lo:[0,1] neg_hi:[0,1]
	v_pk_add_f32 v[54:55], v[54:55], v[80:81]
	v_pk_add_f32 v[76:77], v[76:77], v[56:57]
	v_pk_add_f32 v[56:57], v[56:57], v[80:81] neg_lo:[0,1] neg_hi:[0,1]
	v_pk_fma_f32 v[54:55], v[54:55], 0.5, v[188:189] op_sel_hi:[1,0,1] neg_lo:[1,0,0] neg_hi:[1,0,0]
	v_pk_add_f32 v[56:57], v[78:79], v[56:57]
	v_pk_add_f32 v[78:79], v[54:55], v[72:73] op_sel:[0,1] op_sel_hi:[1,0] neg_lo:[0,1] neg_hi:[0,1]
	v_pk_add_f32 v[54:55], v[54:55], v[72:73] op_sel:[0,1] op_sel_hi:[1,0]
	v_mov_b32_e32 v75, v71
	v_pk_add_f32 v[54:55], v[54:55], v[64:65] op_sel:[0,1] op_sel_hi:[1,0] neg_lo:[0,1] neg_hi:[0,1]
	v_pk_add_f32 v[64:65], v[78:79], v[64:65] op_sel:[0,1] op_sel_hi:[1,0]
	v_mov_b32_e32 v73, v55
	v_mov_b32_e32 v72, v64
	;; [unrolled: 1-line block ×3, first 2 shown]
	v_pk_fma_f32 v[72:73], v[56:57], s[10:11], v[72:73] op_sel_hi:[1,0,1]
	v_pk_fma_f32 v[54:55], v[56:57], s[10:11], v[54:55] op_sel_hi:[1,0,1]
	v_pk_add_f32 v[56:57], v[190:191], v[44:45]
	ds_write_b64 v35, v[54:55] offset:2856
	v_pk_add_f32 v[56:57], v[56:57], v[52:53]
	v_pk_fma_f32 v[54:55], v[66:67], s[10:11], v[74:75] op_sel_hi:[1,0,1]
	v_pk_add_f32 v[56:57], v[56:57], v[42:43]
	v_pk_add_f32 v[76:77], v[76:77], v[80:81]
	;; [unrolled: 1-line block ×3, first 2 shown]
	ds_write_b64 v35, v[72:73] offset:1904
	ds_write_b64 v35, v[54:55] offset:3808
	ds_write2_b64 v114, v[76:77], v[56:57] offset1:17
	v_pk_add_f32 v[54:55], v[52:53], v[42:43]
	v_pk_add_f32 v[56:57], v[44:45], v[48:49] neg_lo:[0,1] neg_hi:[0,1]
	v_pk_add_f32 v[66:67], v[44:45], v[52:53] neg_lo:[0,1] neg_hi:[0,1]
	;; [unrolled: 1-line block ×3, first 2 shown]
	v_pk_fma_f32 v[54:55], v[54:55], 0.5, v[190:191] op_sel_hi:[1,0,1] neg_lo:[1,0,0] neg_hi:[1,0,0]
	v_pk_add_f32 v[66:67], v[66:67], v[70:71]
	v_pk_mul_f32 v[70:71], v[56:57], s[0:1] op_sel_hi:[1,0]
	v_pk_add_f32 v[64:65], v[44:45], v[48:49]
	v_pk_add_f32 v[72:73], v[54:55], v[70:71] op_sel:[0,1] op_sel_hi:[1,0]
	v_pk_add_f32 v[54:55], v[54:55], v[70:71] op_sel:[0,1] op_sel_hi:[1,0] neg_lo:[0,1] neg_hi:[0,1]
	v_pk_add_f32 v[70:71], v[52:53], v[42:43] neg_lo:[0,1] neg_hi:[0,1]
	v_pk_add_f32 v[44:45], v[52:53], v[44:45] neg_lo:[0,1] neg_hi:[0,1]
	v_pk_add_f32 v[42:43], v[42:43], v[48:49] neg_lo:[0,1] neg_hi:[0,1]
	v_pk_fma_f32 v[64:65], v[64:65], 0.5, v[190:191] op_sel_hi:[1,0,1] neg_lo:[1,0,0] neg_hi:[1,0,0]
	v_pk_add_f32 v[42:43], v[44:45], v[42:43]
	v_pk_mul_f32 v[44:45], v[70:71], s[0:1] op_sel_hi:[1,0]
	v_pk_mul_f32 v[56:57], v[56:57], s[12:13] op_sel_hi:[1,0]
	v_pk_add_f32 v[52:53], v[64:65], v[44:45] op_sel:[0,1] op_sel_hi:[1,0] neg_lo:[0,1] neg_hi:[0,1]
	v_pk_add_f32 v[44:45], v[64:65], v[44:45] op_sel:[0,1] op_sel_hi:[1,0]
	v_pk_mul_f32 v[74:75], v[70:71], s[12:13] op_sel_hi:[1,0]
	v_pk_add_f32 v[44:45], v[44:45], v[56:57] op_sel:[0,1] op_sel_hi:[1,0] neg_lo:[0,1] neg_hi:[0,1]
	v_pk_add_f32 v[52:53], v[52:53], v[56:57] op_sel:[0,1] op_sel_hi:[1,0]
	v_pk_add_f32 v[54:55], v[54:55], v[74:75] op_sel:[0,1] op_sel_hi:[1,0] neg_lo:[0,1] neg_hi:[0,1]
	v_pk_add_f32 v[72:73], v[72:73], v[74:75] op_sel:[0,1] op_sel_hi:[1,0]
	v_mov_b32_e32 v56, v52
	v_mov_b32_e32 v57, v45
	;; [unrolled: 1-line block ×4, first 2 shown]
	s_waitcnt lgkmcnt(6)
	v_pk_add_f32 v[48:49], v[60:61], v[2:3]
	v_pk_fma_f32 v[56:57], v[42:43], s[10:11], v[56:57] op_sel_hi:[1,0,1]
	v_pk_fma_f32 v[42:43], v[42:43], s[10:11], v[44:45] op_sel_hi:[1,0,1]
	v_mov_b32_e32 v55, v73
	v_mov_b32_e32 v74, v72
	v_pk_add_f32 v[48:49], v[48:49], v[28:29]
	ds_write_b64 v35, v[42:43] offset:2992
	v_pk_fma_f32 v[42:43], v[66:67], s[10:11], v[54:55] op_sel_hi:[1,0,1]
	v_pk_fma_f32 v[74:75], v[66:67], s[10:11], v[74:75] op_sel_hi:[1,0,1]
	v_pk_add_f32 v[48:49], v[48:49], v[36:37]
	ds_write_b64 v35, v[42:43] offset:3944
	v_pk_add_f32 v[42:43], v[28:29], v[36:37]
	v_pk_add_f32 v[44:45], v[2:3], v[46:47] neg_lo:[0,1] neg_hi:[0,1]
	v_pk_add_f32 v[54:55], v[28:29], v[36:37] neg_lo:[0,1] neg_hi:[0,1]
	;; [unrolled: 1-line block ×5, first 2 shown]
	v_pk_add_f32 v[2:3], v[2:3], v[46:47]
	v_pk_add_f32 v[36:37], v[36:37], v[46:47] neg_lo:[0,1] neg_hi:[0,1]
	v_pk_fma_f32 v[42:43], v[42:43], 0.5, v[60:61] op_sel_hi:[1,0,1] neg_lo:[1,0,0] neg_hi:[1,0,0]
	v_pk_mul_f32 v[52:53], v[44:45], s[0:1] op_sel_hi:[1,0]
	v_pk_fma_f32 v[2:3], v[2:3], 0.5, v[60:61] op_sel_hi:[1,0,1] neg_lo:[1,0,0] neg_hi:[1,0,0]
	v_pk_add_f32 v[28:29], v[28:29], v[36:37]
	v_pk_mul_f32 v[36:37], v[54:55], s[0:1] op_sel_hi:[1,0]
	v_pk_add_f32 v[64:65], v[62:63], v[8:9]
	v_pk_add_f32 v[66:67], v[66:67], v[70:71]
	v_pk_add_f32 v[70:71], v[42:43], v[52:53] op_sel:[0,1] op_sel_hi:[1,0]
	v_pk_add_f32 v[42:43], v[42:43], v[52:53] op_sel:[0,1] op_sel_hi:[1,0] neg_lo:[0,1] neg_hi:[0,1]
	v_pk_mul_f32 v[52:53], v[54:55], s[12:13] op_sel_hi:[1,0]
	v_pk_add_f32 v[54:55], v[2:3], v[36:37] op_sel:[0,1] op_sel_hi:[1,0] neg_lo:[0,1] neg_hi:[0,1]
	v_pk_add_f32 v[2:3], v[2:3], v[36:37] op_sel:[0,1] op_sel_hi:[1,0]
	v_pk_mul_f32 v[44:45], v[44:45], s[12:13] op_sel_hi:[1,0]
	v_pk_add_f32 v[64:65], v[64:65], v[18:19]
	v_pk_add_f32 v[42:43], v[42:43], v[52:53] op_sel:[0,1] op_sel_hi:[1,0] neg_lo:[0,1] neg_hi:[0,1]
	v_pk_add_f32 v[52:53], v[70:71], v[52:53] op_sel:[0,1] op_sel_hi:[1,0]
	v_pk_add_f32 v[2:3], v[2:3], v[44:45] op_sel:[0,1] op_sel_hi:[1,0] neg_lo:[0,1] neg_hi:[0,1]
	v_pk_add_f32 v[44:45], v[54:55], v[44:45] op_sel:[0,1] op_sel_hi:[1,0]
	v_pk_add_f32 v[64:65], v[64:65], v[24:25]
	v_mov_b32_e32 v37, v43
	v_mov_b32_e32 v54, v44
	;; [unrolled: 1-line block ×5, first 2 shown]
	v_pk_add_f32 v[48:49], v[48:49], v[46:47]
	v_pk_add_f32 v[64:65], v[64:65], v[30:31]
	v_pk_fma_f32 v[54:55], v[28:29], s[10:11], v[54:55] op_sel_hi:[1,0,1]
	v_pk_fma_f32 v[2:3], v[28:29], s[10:11], v[2:3] op_sel_hi:[1,0,1]
	;; [unrolled: 1-line block ×3, first 2 shown]
	v_pk_add_f32 v[42:43], v[18:19], v[24:25]
	v_pk_add_f32 v[44:45], v[8:9], v[30:31] neg_lo:[0,1] neg_hi:[0,1]
	ds_write_b64 v35, v[74:75] offset:1088
	ds_write_b64 v35, v[56:57] offset:2040
	v_mov_b32_e32 v36, v52
	ds_write2_b64 v114, v[48:49], v[64:65] offset0:34 offset1:51
	v_pk_fma_f32 v[42:43], v[42:43], 0.5, v[62:63] op_sel_hi:[1,0,1] neg_lo:[1,0,0] neg_hi:[1,0,0]
	v_pk_mul_f32 v[48:49], v[44:45], s[0:1] op_sel_hi:[1,0]
	v_pk_add_f32 v[52:53], v[18:19], v[24:25] neg_lo:[0,1] neg_hi:[0,1]
	v_pk_add_f32 v[60:61], v[8:9], v[18:19] neg_lo:[0,1] neg_hi:[0,1]
	;; [unrolled: 1-line block ×3, first 2 shown]
	v_pk_fma_f32 v[36:37], v[66:67], s[10:11], v[36:37] op_sel_hi:[1,0,1]
	v_pk_add_f32 v[60:61], v[60:61], v[64:65]
	v_pk_add_f32 v[64:65], v[42:43], v[48:49] op_sel:[0,1] op_sel_hi:[1,0]
	v_pk_add_f32 v[42:43], v[42:43], v[48:49] op_sel:[0,1] op_sel_hi:[1,0] neg_lo:[0,1] neg_hi:[0,1]
	v_pk_mul_f32 v[48:49], v[52:53], s[12:13] op_sel_hi:[1,0]
	s_waitcnt lgkmcnt(10)
	v_pk_add_f32 v[56:57], v[192:193], v[6:7]
	v_pk_add_f32 v[42:43], v[42:43], v[48:49] op_sel:[0,1] op_sel_hi:[1,0] neg_lo:[0,1] neg_hi:[0,1]
	v_pk_add_f32 v[48:49], v[64:65], v[48:49] op_sel:[0,1] op_sel_hi:[1,0]
	v_mov_b32_e32 v65, v43
	v_mov_b32_e32 v64, v48
	v_pk_fma_f32 v[64:65], v[60:61], s[10:11], v[64:65] op_sel_hi:[1,0,1]
	ds_write2_b64 v114, v[36:37], v[64:65] offset0:153 offset1:170
	v_pk_add_f32 v[36:37], v[8:9], v[30:31]
	v_pk_add_f32 v[8:9], v[18:19], v[8:9] neg_lo:[0,1] neg_hi:[0,1]
	v_pk_add_f32 v[18:19], v[24:25], v[30:31] neg_lo:[0,1] neg_hi:[0,1]
	v_pk_fma_f32 v[36:37], v[36:37], 0.5, v[62:63] op_sel_hi:[1,0,1] neg_lo:[1,0,0] neg_hi:[1,0,0]
	v_pk_add_f32 v[8:9], v[8:9], v[18:19]
	v_pk_mul_f32 v[18:19], v[52:53], s[0:1] op_sel_hi:[1,0]
	v_pk_mul_f32 v[24:25], v[44:45], s[12:13] op_sel_hi:[1,0]
	v_pk_add_f32 v[30:31], v[36:37], v[18:19] op_sel:[0,1] op_sel_hi:[1,0] neg_lo:[0,1] neg_hi:[0,1]
	v_pk_add_f32 v[18:19], v[36:37], v[18:19] op_sel:[0,1] op_sel_hi:[1,0]
	v_mov_b32_e32 v43, v49
	v_pk_add_f32 v[18:19], v[18:19], v[24:25] op_sel:[0,1] op_sel_hi:[1,0] neg_lo:[0,1] neg_hi:[0,1]
	v_pk_add_f32 v[24:25], v[30:31], v[24:25] op_sel:[0,1] op_sel_hi:[1,0]
	v_mov_b32_e32 v31, v19
	v_mov_b32_e32 v30, v24
	;; [unrolled: 1-line block ×3, first 2 shown]
	v_pk_fma_f32 v[30:31], v[8:9], s[10:11], v[30:31] op_sel_hi:[1,0,1]
	v_pk_fma_f32 v[8:9], v[8:9], s[10:11], v[18:19] op_sel_hi:[1,0,1]
	ds_write2_b64 v58, v[2:3], v[8:9] offset0:135 offset1:152
	v_pk_add_f32 v[8:9], v[16:17], v[22:23]
	v_pk_add_f32 v[18:19], v[6:7], v[40:41] neg_lo:[0,1] neg_hi:[0,1]
	v_pk_fma_f32 v[8:9], v[8:9], 0.5, v[192:193] op_sel_hi:[1,0,1] neg_lo:[1,0,0] neg_hi:[1,0,0]
	v_pk_mul_f32 v[24:25], v[18:19], s[0:1] op_sel_hi:[1,0]
	v_pk_add_f32 v[36:37], v[16:17], v[22:23] neg_lo:[0,1] neg_hi:[0,1]
	v_pk_add_f32 v[44:45], v[6:7], v[16:17] neg_lo:[0,1] neg_hi:[0,1]
	;; [unrolled: 1-line block ×3, first 2 shown]
	v_pk_fma_f32 v[2:3], v[60:61], s[10:11], v[42:43] op_sel_hi:[1,0,1]
	v_pk_mul_f32 v[42:43], v[36:37], s[12:13] op_sel_hi:[1,0]
	v_pk_add_f32 v[44:45], v[44:45], v[48:49]
	v_pk_add_f32 v[48:49], v[8:9], v[24:25] op_sel:[0,1] op_sel_hi:[1,0]
	v_pk_add_f32 v[56:57], v[56:57], v[16:17]
	v_pk_add_f32 v[8:9], v[8:9], v[24:25] op_sel:[0,1] op_sel_hi:[1,0] neg_lo:[0,1] neg_hi:[0,1]
	v_pk_add_f32 v[24:25], v[48:49], v[42:43] op_sel:[0,1] op_sel_hi:[1,0]
	v_pk_add_f32 v[48:49], v[6:7], v[40:41]
	v_pk_add_f32 v[6:7], v[16:17], v[6:7] neg_lo:[0,1] neg_hi:[0,1]
	v_pk_add_f32 v[16:17], v[22:23], v[40:41] neg_lo:[0,1] neg_hi:[0,1]
	v_pk_fma_f32 v[48:49], v[48:49], 0.5, v[192:193] op_sel_hi:[1,0,1] neg_lo:[1,0,0] neg_hi:[1,0,0]
	v_pk_add_f32 v[6:7], v[6:7], v[16:17]
	v_pk_mul_f32 v[16:17], v[36:37], s[0:1] op_sel_hi:[1,0]
	v_pk_add_f32 v[56:57], v[56:57], v[22:23]
	v_pk_mul_f32 v[18:19], v[18:19], s[12:13] op_sel_hi:[1,0]
	v_pk_add_f32 v[22:23], v[48:49], v[16:17] op_sel:[0,1] op_sel_hi:[1,0] neg_lo:[0,1] neg_hi:[0,1]
	v_pk_add_f32 v[16:17], v[48:49], v[16:17] op_sel:[0,1] op_sel_hi:[1,0]
	v_pk_add_f32 v[70:71], v[194:195], v[14:15]
	v_pk_add_f32 v[8:9], v[8:9], v[42:43] op_sel:[0,1] op_sel_hi:[1,0] neg_lo:[0,1] neg_hi:[0,1]
	v_pk_add_f32 v[16:17], v[16:17], v[18:19] op_sel:[0,1] op_sel_hi:[1,0] neg_lo:[0,1] neg_hi:[0,1]
	v_pk_add_f32 v[18:19], v[22:23], v[18:19] op_sel:[0,1] op_sel_hi:[1,0]
	v_pk_add_f32 v[70:71], v[70:71], v[10:11]
	v_mov_b32_e32 v43, v9
	v_mov_b32_e32 v22, v18
	;; [unrolled: 1-line block ×4, first 2 shown]
	v_pk_add_f32 v[70:71], v[70:71], v[38:39]
	v_pk_fma_f32 v[22:23], v[6:7], s[10:11], v[22:23] op_sel_hi:[1,0,1]
	v_pk_fma_f32 v[8:9], v[44:45], s[10:11], v[8:9] op_sel_hi:[1,0,1]
	v_pk_add_f32 v[56:57], v[56:57], v[40:41]
	v_pk_add_f32 v[70:71], v[70:71], v[32:33]
	ds_write2_b64 v58, v[30:31], v[22:23] offset0:33 offset1:50
	v_mov_b32_e32 v17, v19
	ds_write2_b64 v59, v[2:3], v[8:9] offset0:15 offset1:32
	ds_write2_b64 v114, v[56:57], v[70:71] offset0:68 offset1:85
	v_pk_add_f32 v[2:3], v[10:11], v[38:39]
	v_pk_add_f32 v[8:9], v[14:15], v[32:33] neg_lo:[0,1] neg_hi:[0,1]
	v_mov_b32_e32 v42, v24
	v_pk_fma_f32 v[6:7], v[6:7], s[10:11], v[16:17] op_sel_hi:[1,0,1]
	v_pk_fma_f32 v[2:3], v[2:3], 0.5, v[194:195] op_sel_hi:[1,0,1] neg_lo:[1,0,0] neg_hi:[1,0,0]
	v_pk_mul_f32 v[16:17], v[8:9], s[0:1] op_sel_hi:[1,0]
	v_pk_add_f32 v[18:19], v[10:11], v[38:39] neg_lo:[0,1] neg_hi:[0,1]
	v_pk_add_f32 v[24:25], v[14:15], v[10:11] neg_lo:[0,1] neg_hi:[0,1]
	;; [unrolled: 1-line block ×3, first 2 shown]
	v_pk_mul_f32 v[22:23], v[18:19], s[12:13] op_sel_hi:[1,0]
	v_pk_add_f32 v[24:25], v[24:25], v[30:31]
	v_pk_add_f32 v[30:31], v[2:3], v[16:17] op_sel:[0,1] op_sel_hi:[1,0]
	v_pk_add_f32 v[2:3], v[2:3], v[16:17] op_sel:[0,1] op_sel_hi:[1,0] neg_lo:[0,1] neg_hi:[0,1]
	v_pk_add_f32 v[16:17], v[30:31], v[22:23] op_sel:[0,1] op_sel_hi:[1,0]
	v_pk_add_f32 v[2:3], v[2:3], v[22:23] op_sel:[0,1] op_sel_hi:[1,0] neg_lo:[0,1] neg_hi:[0,1]
	v_mov_b32_e32 v22, v16
	v_mov_b32_e32 v23, v3
	v_pk_fma_f32 v[42:43], v[44:45], s[10:11], v[42:43] op_sel_hi:[1,0,1]
	v_pk_fma_f32 v[22:23], v[24:25], s[10:11], v[22:23] op_sel_hi:[1,0,1]
	ds_write2_b64 v114, v[42:43], v[22:23] offset0:187 offset1:204
	v_pk_add_f32 v[22:23], v[14:15], v[32:33]
	v_pk_add_f32 v[10:11], v[10:11], v[14:15] neg_lo:[0,1] neg_hi:[0,1]
	v_pk_add_f32 v[14:15], v[38:39], v[32:33] neg_lo:[0,1] neg_hi:[0,1]
	v_pk_fma_f32 v[22:23], v[22:23], 0.5, v[194:195] op_sel_hi:[1,0,1] neg_lo:[1,0,0] neg_hi:[1,0,0]
	v_pk_add_f32 v[10:11], v[10:11], v[14:15]
	v_pk_mul_f32 v[14:15], v[18:19], s[0:1] op_sel_hi:[1,0]
	v_pk_mul_f32 v[8:9], v[8:9], s[12:13] op_sel_hi:[1,0]
	v_pk_add_f32 v[18:19], v[22:23], v[14:15] op_sel:[0,1] op_sel_hi:[1,0] neg_lo:[0,1] neg_hi:[0,1]
	v_pk_add_f32 v[14:15], v[22:23], v[14:15] op_sel:[0,1] op_sel_hi:[1,0]
	v_mov_b32_e32 v3, v17
	v_pk_add_f32 v[14:15], v[14:15], v[8:9] op_sel:[0,1] op_sel_hi:[1,0] neg_lo:[0,1] neg_hi:[0,1]
	v_pk_add_f32 v[8:9], v[18:19], v[8:9] op_sel:[0,1] op_sel_hi:[1,0]
	v_mov_b32_e32 v19, v15
	v_mov_b32_e32 v15, v9
	;; [unrolled: 1-line block ×3, first 2 shown]
	v_pk_fma_f32 v[8:9], v[10:11], s[10:11], v[14:15] op_sel_hi:[1,0,1]
	ds_write2_b64 v58, v[6:7], v[8:9] offset0:169 offset1:186
	v_pk_add_f32 v[6:7], v[12:13], v[20:21]
	v_pk_add_f32 v[8:9], v[4:5], v[26:27] neg_lo:[0,1] neg_hi:[0,1]
	v_pk_fma_f32 v[18:19], v[10:11], s[10:11], v[18:19] op_sel_hi:[1,0,1]
	v_pk_fma_f32 v[2:3], v[24:25], s[10:11], v[2:3] op_sel_hi:[1,0,1]
	v_pk_fma_f32 v[6:7], v[6:7], 0.5, v[184:185] op_sel_hi:[1,0,1] neg_lo:[1,0,0] neg_hi:[1,0,0]
	v_pk_mul_f32 v[10:11], v[8:9], s[0:1] op_sel_hi:[1,0]
	v_pk_add_f32 v[14:15], v[12:13], v[20:21] neg_lo:[0,1] neg_hi:[0,1]
	v_pk_add_f32 v[22:23], v[4:5], v[12:13] neg_lo:[0,1] neg_hi:[0,1]
	;; [unrolled: 1-line block ×3, first 2 shown]
	v_pk_mul_f32 v[16:17], v[14:15], s[12:13] op_sel_hi:[1,0]
	v_pk_add_f32 v[22:23], v[22:23], v[24:25]
	v_pk_add_f32 v[24:25], v[6:7], v[10:11] op_sel:[0,1] op_sel_hi:[1,0]
	v_pk_add_f32 v[6:7], v[6:7], v[10:11] op_sel:[0,1] op_sel_hi:[1,0] neg_lo:[0,1] neg_hi:[0,1]
	v_pk_add_f32 v[10:11], v[24:25], v[16:17] op_sel:[0,1] op_sel_hi:[1,0]
	v_pk_add_f32 v[6:7], v[6:7], v[16:17] op_sel:[0,1] op_sel_hi:[1,0] neg_lo:[0,1] neg_hi:[0,1]
	v_mov_b32_e32 v16, v10
	v_mov_b32_e32 v17, v7
	v_pk_add_f32 v[46:47], v[184:185], v[4:5]
	v_pk_fma_f32 v[16:17], v[22:23], s[10:11], v[16:17] op_sel_hi:[1,0,1]
	v_add_u32_e32 v42, 0x400, v114
	v_pk_add_f32 v[46:47], v[46:47], v[12:13]
	ds_write2_b64 v42, v[16:17], v[54:55] offset0:93 offset1:144
	v_pk_add_f32 v[16:17], v[4:5], v[26:27]
	v_pk_add_f32 v[4:5], v[12:13], v[4:5] neg_lo:[0,1] neg_hi:[0,1]
	v_pk_add_f32 v[12:13], v[20:21], v[26:27] neg_lo:[0,1] neg_hi:[0,1]
	v_pk_fma_f32 v[16:17], v[16:17], 0.5, v[184:185] op_sel_hi:[1,0,1] neg_lo:[1,0,0] neg_hi:[1,0,0]
	v_pk_add_f32 v[4:5], v[4:5], v[12:13]
	v_pk_mul_f32 v[12:13], v[14:15], s[0:1] op_sel_hi:[1,0]
	v_pk_mul_f32 v[8:9], v[8:9], s[12:13] op_sel_hi:[1,0]
	v_pk_add_f32 v[14:15], v[16:17], v[12:13] op_sel:[0,1] op_sel_hi:[1,0] neg_lo:[0,1] neg_hi:[0,1]
	v_pk_add_f32 v[12:13], v[16:17], v[12:13] op_sel:[0,1] op_sel_hi:[1,0]
	v_mov_b32_e32 v7, v11
	v_pk_add_f32 v[12:13], v[12:13], v[8:9] op_sel:[0,1] op_sel_hi:[1,0] neg_lo:[0,1] neg_hi:[0,1]
	v_pk_add_f32 v[8:9], v[14:15], v[8:9] op_sel:[0,1] op_sel_hi:[1,0]
	v_mov_b32_e32 v15, v13
	v_mov_b32_e32 v14, v8
	;; [unrolled: 1-line block ×3, first 2 shown]
	v_pk_fma_f32 v[14:15], v[4:5], s[10:11], v[14:15] op_sel_hi:[1,0,1]
	v_pk_fma_f32 v[4:5], v[4:5], s[10:11], v[12:13] op_sel_hi:[1,0,1]
	v_pk_add_f32 v[46:47], v[46:47], v[20:21]
	ds_write2_b64 v58, v[4:5], v[28:29] offset0:203 offset1:254
	v_pk_fma_f32 v[4:5], v[22:23], s[10:11], v[6:7] op_sel_hi:[1,0,1]
	v_pk_add_f32 v[46:47], v[46:47], v[26:27]
	ds_write2_b64 v59, v[2:3], v[4:5] offset0:49 offset1:66
	v_lshlrev_b32_e32 v2, 3, v68
	ds_write_b64 v114, v[46:47] offset:816
	ds_write2_b64 v58, v[18:19], v[14:15] offset0:67 offset1:84
	s_waitcnt lgkmcnt(0)
	; wave barrier
	s_waitcnt lgkmcnt(0)
	global_load_dwordx2 v[40:41], v2, s[8:9]
	global_load_dwordx2 v[36:37], v2, s[8:9] offset:1360
	global_load_dwordx2 v[14:15], v2, s[8:9] offset:2720
	;; [unrolled: 1-line block ×7, first 2 shown]
	v_mov_b32_e32 v3, 0
	s_movk_i32 s0, 0x1000
	v_lshl_add_u64 v[10:11], s[8:9], 0, v[2:3]
	v_add_co_u32_e64 v16, s[0:1], s0, v10
	s_mov_b32 s12, 0xbeae86e6
	s_nop 0
	v_addc_co_u32_e64 v17, s[0:1], 0, v11, s[0:1]
	global_load_dwordx2 v[12:13], v[16:17], off offset:120
	global_load_dwordx2 v[22:23], v2, s[8:9] offset:952
	global_load_dwordx2 v[18:19], v2, s[8:9] offset:2176
	;; [unrolled: 1-line block ×4, first 2 shown]
	ds_read2_b64 v[188:191], v114 offset1:17
	global_load_dwordx2 v[20:21], v2, s[8:9] offset:2040
	global_load_dwordx2 v[10:11], v2, s[8:9] offset:272
	;; [unrolled: 1-line block ×3, first 2 shown]
	ds_read2_b64 v[184:187], v114 offset0:68 offset1:85
	ds_read2_b64 v[44:47], v114 offset0:170 offset1:187
	s_mov_b32 s13, 0x3f08b237
	s_mov_b32 s16, s13
	;; [unrolled: 1-line block ×5, first 2 shown]
	v_accvgpr_write_b32 a6, v167
	v_accvgpr_write_b32 a8, v163
	;; [unrolled: 1-line block ×14, first 2 shown]
	v_mov_b32_e32 v35, v34
	v_accvgpr_read_b32 v68, a180
	v_accvgpr_write_b32 a204, v128
	v_accvgpr_mov_b32 a32, a192
	v_accvgpr_mov_b32 a33, a192
	v_accvgpr_write_b32 a198, v122
	v_accvgpr_write_b32 a197, v121
	;; [unrolled: 1-line block ×3, first 2 shown]
	v_accvgpr_mov_b32 a52, a194
	v_accvgpr_mov_b32 a53, a194
	v_accvgpr_write_b32 a236, v160
	v_accvgpr_write_b32 a238, v162
	;; [unrolled: 1-line block ×30, first 2 shown]
	s_waitcnt vmcnt(15) lgkmcnt(2)
	v_mul_f32_e32 v3, v189, v41
	v_mul_f32_e32 v39, v188, v41
	v_fma_f32 v38, v188, v40, -v3
	v_fmac_f32_e32 v39, v189, v40
	global_load_dwordx2 v[48:49], v2, s[8:9] offset:3400
	global_load_dwordx2 v[56:57], v2, s[8:9] offset:3536
	;; [unrolled: 1-line block ×4, first 2 shown]
	ds_read2_b64 v[52:55], v58 offset0:84 offset1:101
	s_waitcnt vmcnt(18) lgkmcnt(1)
	v_mul_f32_e32 v3, v45, v37
	v_fma_f32 v66, v44, v36, -v3
	v_mul_f32_e32 v67, v44, v37
	v_fmac_f32_e32 v67, v45, v36
	s_waitcnt vmcnt(17) lgkmcnt(0)
	v_mul_f32_e32 v3, v53, v15
	v_fma_f32 v70, v52, v14, -v3
	v_mul_f32_e32 v71, v52, v15
	s_waitcnt vmcnt(16)
	v_mul_f32_e32 v3, v191, v31
	global_load_dwordx2 v[36:37], v2, s[8:9] offset:2992
	global_load_dwordx2 v[44:45], v2, s[8:9] offset:3128
	ds_read2_b64 v[60:63], v1 offset0:126 offset1:143
	v_fmac_f32_e32 v71, v53, v14
	v_fma_f32 v14, v190, v30, -v3
	v_mul_f32_e32 v15, v190, v31
	s_waitcnt vmcnt(17)
	v_mul_f32_e32 v3, v47, v33
	v_mul_f32_e32 v73, v46, v33
	v_fmac_f32_e32 v15, v191, v30
	v_fma_f32 v72, v46, v32, -v3
	v_fmac_f32_e32 v73, v47, v32
	ds_read2_b64 v[30:33], v114 offset0:102 offset1:119
	global_load_dwordx2 v[52:53], v2, s[8:9] offset:1632
	s_waitcnt vmcnt(17) lgkmcnt(1)
	v_mul_f32_e32 v3, v61, v7
	v_fma_f32 v76, v60, v6, -v3
	v_mul_f32_e32 v77, v60, v7
	s_waitcnt vmcnt(16) lgkmcnt(0)
	v_mul_f32_e32 v3, v31, v5
	v_fma_f32 v60, v30, v4, -v3
	v_accvgpr_read_b32 v3, a209
	global_load_dwordx2 v[46:47], v2, s[8:9] offset:3808
	global_load_dwordx2 v[74:75], v2, s[8:9] offset:3944
	v_fmac_f32_e32 v77, v61, v6
	v_mul_f32_e32 v61, v30, v5
	global_load_dwordx2 v[78:79], v[16:17], off offset:392
	global_load_dwordx2 v[80:81], v[16:17], off offset:528
	global_load_dwordx2 v[82:83], v3, s[8:9]
	s_waitcnt vmcnt(20)
	v_mul_f32_e32 v3, v55, v9
	v_mul_f32_e32 v17, v54, v9
	v_fmac_f32_e32 v61, v31, v4
	v_fma_f32 v16, v54, v8, -v3
	v_fmac_f32_e32 v17, v55, v8
	global_load_dwordx2 v[30:31], v2, s[8:9] offset:1088
	global_load_dwordx2 v[54:55], v2, s[8:9] offset:1768
	ds_read2_b64 v[4:7], v58 offset0:16 offset1:33
	s_waitcnt vmcnt(21)
	v_mul_f32_e32 v3, v63, v13
	global_load_dwordx2 v[84:85], v2, s[8:9] offset:2448
	v_fma_f32 v8, v62, v12, -v3
	v_mul_f32_e32 v9, v62, v13
	s_waitcnt vmcnt(21)
	v_mul_f32_e32 v3, v33, v23
	v_fmac_f32_e32 v9, v63, v12
	v_fma_f32 v62, v32, v22, -v3
	v_mul_f32_e32 v63, v32, v23
	s_waitcnt vmcnt(20) lgkmcnt(0)
	v_mul_f32_e32 v3, v5, v19
	v_fmac_f32_e32 v63, v33, v22
	v_fma_f32 v22, v4, v18, -v3
	v_mul_f32_e32 v23, v4, v19
	s_waitcnt vmcnt(19)
	v_mul_f32_e32 v3, v7, v27
	v_mul_f32_e32 v89, v6, v27
	global_load_dwordx2 v[32:33], v2, s[8:9] offset:544
	global_load_dwordx2 v[86:87], v2, s[8:9] offset:2584
	v_fmac_f32_e32 v23, v5, v18
	v_fma_f32 v88, v6, v26, -v3
	v_fmac_f32_e32 v89, v7, v26
	ds_read2_b64 v[4:7], v114 offset0:238 offset1:255
	ds_write2_b64 v114, v[38:39], v[14:15] offset1:17
	ds_read2_b64 v[12:15], v58 offset0:186 offset1:203
	s_waitcnt vmcnt(20)
	v_mul_f32_e32 v3, v187, v25
	v_fma_f32 v90, v186, v24, -v3
	global_load_dwordx2 v[38:39], v2, s[8:9] offset:1904
	s_waitcnt vmcnt(20) lgkmcnt(2)
	v_mul_f32_e32 v3, v7, v21
	v_mul_f32_e32 v91, v186, v25
	ds_write2_b64 v114, v[66:67], v[72:73] offset0:170 offset1:187
	v_fma_f32 v66, v6, v20, -v3
	v_fmac_f32_e32 v91, v187, v24
	ds_write2_b64 v58, v[70:71], v[16:17] offset0:84 offset1:101
	v_mul_f32_e32 v67, v6, v21
	ds_read2_b64 v[16:19], v58 offset0:152 offset1:169
	ds_write2_b64 v1, v[76:77], v[8:9] offset0:126 offset1:143
	v_fmac_f32_e32 v67, v7, v20
	ds_read2_b64 v[6:9], v114 offset0:34 offset1:51
	ds_write2_b64 v58, v[22:23], v[88:89] offset0:16 offset1:33
	ds_write2_b64 v114, v[60:61], v[62:63] offset0:102 offset1:119
	v_accvgpr_read_b32 v72, a184
	s_waitcnt vmcnt(16) lgkmcnt(7)
	v_mul_f32_e32 v3, v13, v57
	v_fma_f32 v24, v12, v56, -v3
	s_waitcnt vmcnt(15)
	v_mul_f32_e32 v3, v15, v65
	v_fma_f32 v26, v14, v64, -v3
	global_load_dwordx2 v[2:3], v2, s[8:9] offset:3264
	v_mul_f32_e32 v25, v12, v57
	v_mul_f32_e32 v27, v14, v65
	s_waitcnt lgkmcnt(4)
	v_mul_f32_e32 v12, v19, v49
	v_fmac_f32_e32 v27, v15, v64
	v_fma_f32 v14, v18, v48, -v12
	v_mul_f32_e32 v15, v18, v49
	s_waitcnt lgkmcnt(2)
	v_mul_f32_e32 v12, v7, v11
	v_mul_f32_e32 v49, v6, v11
	v_fmac_f32_e32 v25, v13, v56
	v_fmac_f32_e32 v15, v19, v48
	v_fma_f32 v48, v6, v10, -v12
	v_fmac_f32_e32 v49, v7, v10
	ds_read2_b64 v[10:13], v114 offset0:204 offset1:221
	v_mul_f32_e32 v6, v9, v29
	v_mul_f32_e32 v57, v8, v29
	v_fma_f32 v56, v8, v28, -v6
	v_fmac_f32_e32 v57, v9, v28
	ds_read2_b64 v[6:9], v58 offset0:118 offset1:135
	s_waitcnt vmcnt(12) lgkmcnt(1)
	v_mul_f32_e32 v18, v11, v53
	v_fma_f32 v28, v10, v52, -v18
	ds_read2_b64 v[18:21], v59 offset0:32 offset1:49
	v_mul_f32_e32 v29, v10, v53
	s_waitcnt lgkmcnt(1)
	v_mul_f32_e32 v53, v6, v37
	v_mul_f32_e32 v10, v7, v37
	v_fmac_f32_e32 v53, v7, v36
	v_fmac_f32_e32 v29, v11, v52
	v_fma_f32 v52, v6, v36, -v10
	ds_write2_b64 v58, v[24:25], v[26:27] offset0:186 offset1:203
	ds_read2_b64 v[22:25], v114 offset0:136 offset1:153
	s_waitcnt vmcnt(7) lgkmcnt(2)
	v_mul_f32_e32 v7, v18, v83
	v_mul_f32_e32 v6, v19, v83
	v_fmac_f32_e32 v7, v19, v82
	v_fma_f32 v6, v18, v82, -v6
	ds_write2_b64 v114, v[48:49], v[56:57] offset0:34 offset1:51
	s_waitcnt vmcnt(6) lgkmcnt(1)
	v_mul_f32_e32 v26, v23, v31
	s_waitcnt vmcnt(5)
	v_mul_f32_e32 v10, v13, v55
	v_mul_f32_e32 v19, v12, v55
	v_fma_f32 v18, v12, v54, -v10
	v_fmac_f32_e32 v19, v13, v54
	ds_read2_b64 v[10:13], v58 offset0:50 offset1:67
	ds_write2_b64 v114, v[28:29], v[18:19] offset0:204 offset1:221
	v_mul_f32_e32 v37, v22, v31
	v_fma_f32 v36, v22, v30, -v26
	v_fmac_f32_e32 v37, v23, v30
	s_waitcnt vmcnt(4) lgkmcnt(1)
	v_mul_f32_e32 v18, v11, v85
	v_mul_f32_e32 v19, v10, v85
	v_fma_f32 v18, v10, v84, -v18
	v_fmac_f32_e32 v19, v11, v84
	v_mul_f32_e32 v10, v9, v45
	v_mul_f32_e32 v11, v8, v45
	v_fma_f32 v10, v8, v44, -v10
	v_fmac_f32_e32 v11, v9, v44
	ds_write2_b64 v58, v[52:53], v[10:11] offset0:118 offset1:135
	v_mul_f32_e32 v10, v21, v79
	v_mul_f32_e32 v11, v20, v79
	v_fma_f32 v10, v20, v78, -v10
	v_fmac_f32_e32 v11, v21, v78
	ds_write2_b64 v59, v[6:7], v[10:11] offset0:32 offset1:49
	s_waitcnt vmcnt(3)
	v_mul_f32_e32 v6, v185, v33
	v_mul_f32_e32 v7, v184, v33
	v_fma_f32 v6, v184, v32, -v6
	v_fmac_f32_e32 v7, v185, v32
	ds_write2_b64 v114, v[6:7], v[90:91] offset0:68 offset1:85
	v_mul_f32_e32 v6, v25, v41
	v_mul_f32_e32 v7, v24, v41
	v_fma_f32 v6, v24, v40, -v6
	v_fmac_f32_e32 v7, v25, v40
	ds_write2_b64 v114, v[36:37], v[6:7] offset0:136 offset1:153
	s_waitcnt vmcnt(1)
	v_mul_f32_e32 v6, v5, v39
	v_mul_f32_e32 v7, v4, v39
	v_fma_f32 v6, v4, v38, -v6
	v_fmac_f32_e32 v7, v5, v38
	v_mul_f32_e32 v4, v13, v87
	v_mul_f32_e32 v5, v12, v87
	ds_read2_b64 v[26:29], v58 offset0:220 offset1:237
	v_fma_f32 v4, v12, v86, -v4
	v_fmac_f32_e32 v5, v13, v86
	ds_write2_b64 v58, v[18:19], v[4:5] offset0:50 offset1:67
	ds_write2_b64 v114, v[6:7], v[66:67] offset0:238 offset1:255
	s_waitcnt vmcnt(0)
	v_mul_f32_e32 v4, v17, v3
	v_mul_f32_e32 v5, v16, v3
	v_fma_f32 v4, v16, v2, -v4
	v_fmac_f32_e32 v5, v17, v2
	ds_read_b64 v[2:3], v114 offset:4624
	s_waitcnt lgkmcnt(3)
	v_mul_f32_e32 v8, v27, v47
	v_mul_f32_e32 v9, v26, v47
	ds_write2_b64 v58, v[4:5], v[14:15] offset0:152 offset1:169
	v_mul_f32_e32 v4, v29, v75
	v_mul_f32_e32 v5, v28, v75
	v_fma_f32 v8, v26, v46, -v8
	v_fmac_f32_e32 v9, v27, v46
	v_fma_f32 v4, v28, v74, -v4
	v_fmac_f32_e32 v5, v29, v74
	ds_write2_b64 v58, v[8:9], v[4:5] offset0:220 offset1:237
	s_waitcnt lgkmcnt(2)
	v_mul_f32_e32 v4, v3, v81
	v_mul_f32_e32 v5, v2, v81
	v_fma_f32 v4, v2, v80, -v4
	v_fmac_f32_e32 v5, v3, v80
	ds_write_b64 v114, v[4:5] offset:4624
	s_waitcnt lgkmcnt(0)
	; wave barrier
	s_waitcnt lgkmcnt(0)
	ds_read2_b64 v[210:213], v114 offset1:17
	ds_read2_b64 v[200:203], v114 offset0:102 offset1:119
	ds_read2_b64 v[216:219], v114 offset0:170 offset1:187
	;; [unrolled: 1-line block ×9, first 2 shown]
	s_mov_b32 s8, 0x3d64c772
	s_mov_b32 s9, 0x3f4a47b2
	;; [unrolled: 1-line block ×3, first 2 shown]
	s_waitcnt lgkmcnt(2)
	v_pk_add_f32 v[8:9], v[194:195], v[226:227]
	s_waitcnt lgkmcnt(1)
	v_pk_add_f32 v[10:11], v[216:217], v[186:187]
	s_waitcnt lgkmcnt(0)
	v_pk_add_f32 v[2:3], v[190:191], v[220:221]
	v_pk_add_f32 v[4:5], v[10:11], v[8:9]
	v_pk_add_f32 v[14:15], v[194:195], v[226:227] neg_lo:[0,1] neg_hi:[0,1]
	v_pk_add_f32 v[16:17], v[216:217], v[186:187] neg_lo:[0,1] neg_hi:[0,1]
	;; [unrolled: 1-line block ×3, first 2 shown]
	v_mov_b32_e32 v18, v2
	v_mov_b32_e32 v19, v9
	;; [unrolled: 1-line block ×4, first 2 shown]
	v_pk_add_f32 v[4:5], v[2:3], v[4:5]
	v_pk_add_f32 v[18:19], v[18:19], v[20:21] neg_lo:[0,1] neg_hi:[0,1]
	v_mov_b32_e32 v20, v8
	v_mov_b32_e32 v3, v11
	v_mov_b32_e32 v22, v7
	v_mov_b32_e32 v23, v14
	v_mov_b32_e32 v24, v17
	v_mov_b32_e32 v25, v6
	v_pk_add_f32 v[20:21], v[20:21], v[2:3] neg_lo:[0,1] neg_hi:[0,1]
	v_pk_add_f32 v[2:3], v[6:7], v[16:17]
	v_pk_add_f32 v[22:23], v[22:23], v[24:25] neg_lo:[0,1] neg_hi:[0,1]
	v_mov_b32_e32 v24, v15
	v_mov_b32_e32 v6, v7
	;; [unrolled: 1-line block ×3, first 2 shown]
	s_mov_b32 s15, s8
	v_pk_add_f32 v[12:13], v[210:211], v[4:5]
	v_pk_add_f32 v[24:25], v[24:25], v[6:7] neg_lo:[0,1] neg_hi:[0,1]
	v_pk_add_f32 v[26:27], v[2:3], v[14:15]
	v_pk_mul_f32 v[18:19], v[18:19], s[8:9]
	v_pk_mul_f32 v[22:23], v[22:23], s[16:17]
	v_pk_mul_f32 v[2:3], v[26:27], s[0:1] op_sel_hi:[1,0]
	v_pk_fma_f32 v[28:29], v[4:5], s[10:11], v[12:13] op_sel_hi:[1,0,1] neg_lo:[1,0,0] neg_hi:[1,0,0]
	v_pk_fma_f32 v[4:5], v[20:21], s[14:15], v[18:19]
	v_pk_fma_f32 v[6:7], v[24:25], s[12:13], v[22:23]
	v_pk_add_f32 v[4:5], v[4:5], v[28:29]
	v_pk_add_f32 v[2:3], v[2:3], v[6:7] op_sel:[1,0] op_sel_hi:[0,1]
	v_pk_add_f32 v[6:7], v[4:5], v[2:3]
	v_pk_add_f32 v[4:5], v[4:5], v[2:3] neg_lo:[0,1] neg_hi:[0,1]
	v_mov_b32_e32 v30, v6
	v_mov_b32_e32 v31, v5
	v_accvgpr_read_b32 v1, a217
	ds_read2_b64 v[230:233], v114 offset0:34 offset1:51
	ds_read_b64 v[2:3], v114 offset:4624
	ds_read2_b64 v[234:237], v114 offset0:204 offset1:221
	ds_read2_b64 v[238:241], v58 offset0:118 offset1:135
	ds_read2_b64 v[242:245], v59 offset0:32 offset1:49
	ds_read2_b64 v[214:217], v114 offset0:136 offset1:153
	ds_read2_b64 v[208:211], v58 offset0:50 offset1:67
	ds_read2_b64 v[224:227], v58 offset0:220 offset1:237
	s_waitcnt lgkmcnt(0)
	; wave barrier
	s_waitcnt lgkmcnt(0)
	ds_write2_b64 v1, v[12:13], v[30:31] offset1:1
	v_pk_add_f32 v[8:9], v[10:11], v[8:9] neg_lo:[0,1] neg_hi:[0,1]
	v_pk_add_f32 v[10:11], v[16:17], v[14:15] neg_lo:[0,1] neg_hi:[0,1]
	v_pk_mul_f32 v[12:13], v[20:21], s[14:15]
	v_pk_mul_f32 v[14:15], v[24:25], s[12:13]
	v_mov_b32_e32 v16, v12
	v_mov_b32_e32 v17, v19
	;; [unrolled: 1-line block ×7, first 2 shown]
	v_pk_fma_f32 v[16:17], v[8:9], s[20:21], v[16:17] op_sel_hi:[1,0,1] neg_lo:[1,0,1] neg_hi:[1,0,1]
	v_pk_fma_f32 v[20:21], v[10:11], s[18:19], v[20:21] op_sel_hi:[1,0,1] neg_lo:[1,0,1] neg_hi:[1,0,1]
	;; [unrolled: 1-line block ×4, first 2 shown]
	v_pk_add_f32 v[16:17], v[16:17], v[28:29]
	v_pk_fma_f32 v[20:21], v[26:27], s[0:1], v[20:21] op_sel_hi:[1,0,1]
	v_pk_add_f32 v[8:9], v[8:9], v[28:29]
	v_pk_fma_f32 v[10:11], v[26:27], s[0:1], v[10:11] op_sel_hi:[1,0,1]
	v_pk_add_f32 v[24:25], v[16:17], v[20:21] op_sel:[0,1] op_sel_hi:[1,0]
	v_pk_add_f32 v[16:17], v[16:17], v[20:21] op_sel:[0,1] op_sel_hi:[1,0] neg_lo:[0,1] neg_hi:[0,1]
	v_pk_add_f32 v[12:13], v[8:9], v[10:11] op_sel:[0,1] op_sel_hi:[1,0] neg_lo:[0,1] neg_hi:[0,1]
	v_pk_add_f32 v[8:9], v[8:9], v[10:11] op_sel:[0,1] op_sel_hi:[1,0]
	v_mov_b32_e32 v10, v24
	v_mov_b32_e32 v11, v17
	;; [unrolled: 1-line block ×6, first 2 shown]
	ds_write2_b64 v1, v[10:11], v[14:15] offset0:2 offset1:3
	ds_write2_b64 v1, v[8:9], v[16:17] offset0:4 offset1:5
	v_pk_add_f32 v[8:9], v[200:201], v[228:229]
	v_pk_add_f32 v[10:11], v[218:219], v[204:205]
	;; [unrolled: 1-line block ×4, first 2 shown]
	v_mov_b32_e32 v24, v12
	v_mov_b32_e32 v25, v9
	v_mov_b32_e32 v26, v10
	v_mov_b32_e32 v27, v13
	v_pk_add_f32 v[14:15], v[12:13], v[14:15]
	v_pk_add_f32 v[18:19], v[200:201], v[228:229] neg_lo:[0,1] neg_hi:[0,1]
	v_pk_add_f32 v[20:21], v[218:219], v[204:205] neg_lo:[0,1] neg_hi:[0,1]
	;; [unrolled: 1-line block ×4, first 2 shown]
	v_mov_b32_e32 v26, v8
	v_mov_b32_e32 v13, v11
	v_pk_add_f32 v[12:13], v[26:27], v[12:13] neg_lo:[0,1] neg_hi:[0,1]
	v_mov_b32_e32 v26, v23
	v_mov_b32_e32 v27, v18
	;; [unrolled: 1-line block ×4, first 2 shown]
	v_pk_add_f32 v[26:27], v[26:27], v[28:29] neg_lo:[0,1] neg_hi:[0,1]
	v_mov_b32_e32 v28, v19
	v_mov_b32_e32 v30, v23
	;; [unrolled: 1-line block ×3, first 2 shown]
	v_pk_add_f32 v[22:23], v[22:23], v[20:21]
	v_pk_add_f32 v[28:29], v[28:29], v[30:31] neg_lo:[0,1] neg_hi:[0,1]
	v_pk_add_f32 v[22:23], v[22:23], v[18:19]
	v_pk_mul_f32 v[26:27], v[26:27], s[16:17]
	v_pk_mul_f32 v[30:31], v[22:23], s[0:1] op_sel_hi:[1,0]
	v_pk_fma_f32 v[32:33], v[28:29], s[12:13], v[26:27]
	v_pk_mul_f32 v[24:25], v[24:25], s[8:9]
	v_pk_add_f32 v[30:31], v[30:31], v[32:33] op_sel:[1,0] op_sel_hi:[0,1]
	v_pk_fma_f32 v[32:33], v[12:13], s[14:15], v[24:25]
	v_pk_add_f32 v[8:9], v[10:11], v[8:9] neg_lo:[0,1] neg_hi:[0,1]
	v_pk_add_f32 v[10:11], v[20:21], v[18:19] neg_lo:[0,1] neg_hi:[0,1]
	v_pk_mul_f32 v[12:13], v[12:13], s[14:15]
	v_pk_mul_f32 v[18:19], v[28:29], s[12:13]
	v_pk_add_f32 v[16:17], v[212:213], v[14:15]
	v_mov_b32_e32 v20, v12
	v_mov_b32_e32 v21, v25
	;; [unrolled: 1-line block ×7, first 2 shown]
	v_pk_fma_f32 v[14:15], v[14:15], s[10:11], v[16:17] op_sel_hi:[1,0,1] neg_lo:[1,0,0] neg_hi:[1,0,0]
	v_pk_fma_f32 v[20:21], v[8:9], s[20:21], v[20:21] op_sel_hi:[1,0,1] neg_lo:[1,0,1] neg_hi:[1,0,1]
	;; [unrolled: 1-line block ×5, first 2 shown]
	v_pk_add_f32 v[8:9], v[8:9], v[14:15]
	v_pk_fma_f32 v[10:11], v[22:23], s[0:1], v[10:11] op_sel_hi:[1,0,1]
	v_pk_add_f32 v[32:33], v[32:33], v[14:15]
	v_pk_add_f32 v[20:21], v[20:21], v[14:15]
	v_pk_fma_f32 v[28:29], v[22:23], s[0:1], v[28:29] op_sel_hi:[1,0,1]
	v_pk_add_f32 v[12:13], v[8:9], v[10:11] op_sel:[0,1] op_sel_hi:[1,0] neg_lo:[0,1] neg_hi:[0,1]
	v_pk_add_f32 v[8:9], v[8:9], v[10:11] op_sel:[0,1] op_sel_hi:[1,0]
	v_pk_add_f32 v[10:11], v[202:203], v[242:243]
	v_pk_add_f32 v[18:19], v[234:235], v[206:207]
	;; [unrolled: 1-line block ×4, first 2 shown]
	v_pk_add_f32 v[30:31], v[32:33], v[30:31] neg_lo:[0,1] neg_hi:[0,1]
	v_pk_add_f32 v[32:33], v[20:21], v[28:29] op_sel:[0,1] op_sel_hi:[1,0]
	v_pk_add_f32 v[20:21], v[20:21], v[28:29] op_sel:[0,1] op_sel_hi:[1,0] neg_lo:[0,1] neg_hi:[0,1]
	v_mov_b32_e32 v28, v24
	v_mov_b32_e32 v29, v11
	v_mov_b32_e32 v38, v18
	v_mov_b32_e32 v39, v25
	v_pk_add_f32 v[28:29], v[28:29], v[38:39] neg_lo:[0,1] neg_hi:[0,1]
	v_pk_add_f32 v[38:39], v[18:19], v[10:11]
	v_pk_add_f32 v[14:15], v[202:203], v[242:243] neg_lo:[0,1] neg_hi:[0,1]
	v_pk_add_f32 v[22:23], v[234:235], v[206:207] neg_lo:[0,1] neg_hi:[0,1]
	;; [unrolled: 1-line block ×3, first 2 shown]
	v_pk_add_f32 v[38:39], v[24:25], v[38:39]
	v_mov_b32_e32 v40, v10
	v_mov_b32_e32 v41, v25
	;; [unrolled: 1-line block ×3, first 2 shown]
	v_pk_add_f32 v[24:25], v[40:41], v[24:25] neg_lo:[0,1] neg_hi:[0,1]
	v_mov_b32_e32 v40, v27
	v_mov_b32_e32 v41, v14
	;; [unrolled: 1-line block ×4, first 2 shown]
	v_pk_add_f32 v[40:41], v[40:41], v[44:45] neg_lo:[0,1] neg_hi:[0,1]
	v_mov_b32_e32 v44, v15
	v_mov_b32_e32 v46, v27
	;; [unrolled: 1-line block ×3, first 2 shown]
	v_pk_add_f32 v[26:27], v[26:27], v[22:23]
	v_pk_add_f32 v[44:45], v[44:45], v[46:47] neg_lo:[0,1] neg_hi:[0,1]
	v_pk_add_f32 v[26:27], v[26:27], v[14:15]
	v_pk_mul_f32 v[40:41], v[40:41], s[16:17]
	v_pk_mul_f32 v[46:47], v[26:27], s[0:1] op_sel_hi:[1,0]
	v_pk_fma_f32 v[48:49], v[44:45], s[12:13], v[40:41]
	v_pk_mul_f32 v[28:29], v[28:29], s[8:9]
	v_pk_add_f32 v[10:11], v[18:19], v[10:11] neg_lo:[0,1] neg_hi:[0,1]
	v_pk_add_f32 v[14:15], v[22:23], v[14:15] neg_lo:[0,1] neg_hi:[0,1]
	v_pk_mul_f32 v[18:19], v[24:25], s[14:15]
	v_pk_mul_f32 v[22:23], v[44:45], s[12:13]
	v_pk_add_f32 v[46:47], v[46:47], v[48:49] op_sel:[1,0] op_sel_hi:[0,1]
	v_pk_add_f32 v[48:49], v[230:231], v[38:39]
	v_pk_fma_f32 v[52:53], v[24:25], s[14:15], v[28:29]
	v_mov_b32_e32 v24, v18
	v_mov_b32_e32 v25, v29
	;; [unrolled: 1-line block ×7, first 2 shown]
	v_pk_fma_f32 v[38:39], v[38:39], s[10:11], v[48:49] op_sel_hi:[1,0,1] neg_lo:[1,0,0] neg_hi:[1,0,0]
	v_pk_fma_f32 v[24:25], v[10:11], s[20:21], v[24:25] op_sel_hi:[1,0,1] neg_lo:[1,0,1] neg_hi:[1,0,1]
	;; [unrolled: 1-line block ×5, first 2 shown]
	v_mov_b32_e32 v5, v7
	v_pk_add_f32 v[10:11], v[10:11], v[38:39]
	v_pk_fma_f32 v[14:15], v[26:27], s[0:1], v[14:15] op_sel_hi:[1,0,1]
	ds_write_b64 v1, v[4:5] offset:48
	v_mov_b32_e32 v4, v36
	v_mov_b32_e32 v5, v31
	v_accvgpr_read_b32 v36, a213
	v_pk_fma_f32 v[44:45], v[26:27], s[0:1], v[44:45] op_sel_hi:[1,0,1]
	v_pk_add_f32 v[18:19], v[10:11], v[14:15] op_sel:[0,1] op_sel_hi:[1,0] neg_lo:[0,1] neg_hi:[0,1]
	v_pk_add_f32 v[10:11], v[10:11], v[14:15] op_sel:[0,1] op_sel_hi:[1,0]
	v_pk_add_f32 v[14:15], v[214:215], v[244:245]
	v_pk_add_f32 v[22:23], v[236:237], v[224:225]
	v_pk_add_f32 v[26:27], v[208:209], v[240:241]
	ds_write2_b64 v36, v[16:17], v[4:5] offset1:1
	v_mov_b32_e32 v4, v32
	v_mov_b32_e32 v5, v21
	;; [unrolled: 1-line block ×4, first 2 shown]
	v_pk_add_f32 v[52:53], v[52:53], v[38:39]
	v_pk_add_f32 v[24:25], v[24:25], v[38:39]
	;; [unrolled: 1-line block ×3, first 2 shown]
	ds_write2_b64 v36, v[4:5], v[6:7] offset0:2 offset1:3
	v_mov_b32_e32 v4, v26
	v_mov_b32_e32 v5, v15
	;; [unrolled: 1-line block ×4, first 2 shown]
	v_pk_add_f32 v[54:55], v[52:53], v[46:47]
	v_pk_add_f32 v[46:47], v[52:53], v[46:47] neg_lo:[0,1] neg_hi:[0,1]
	v_pk_add_f32 v[52:53], v[24:25], v[44:45] op_sel:[0,1] op_sel_hi:[1,0]
	v_pk_add_f32 v[24:25], v[24:25], v[44:45] op_sel:[0,1] op_sel_hi:[1,0] neg_lo:[0,1] neg_hi:[0,1]
	v_pk_add_f32 v[28:29], v[26:27], v[28:29]
	v_pk_add_f32 v[40:41], v[214:215], v[244:245] neg_lo:[0,1] neg_hi:[0,1]
	v_pk_add_f32 v[44:45], v[236:237], v[224:225] neg_lo:[0,1] neg_hi:[0,1]
	;; [unrolled: 1-line block ×4, first 2 shown]
	v_mov_b32_e32 v6, v14
	v_mov_b32_e32 v27, v23
	v_pk_add_f32 v[6:7], v[6:7], v[26:27] neg_lo:[0,1] neg_hi:[0,1]
	v_mov_b32_e32 v16, v57
	v_mov_b32_e32 v17, v40
	v_mov_b32_e32 v26, v45
	v_mov_b32_e32 v27, v56
	v_pk_add_f32 v[16:17], v[16:17], v[26:27] neg_lo:[0,1] neg_hi:[0,1]
	v_mov_b32_e32 v26, v41
	v_mov_b32_e32 v60, v57
	;; [unrolled: 1-line block ×4, first 2 shown]
	v_pk_add_f32 v[12:13], v[56:57], v[44:45]
	v_pk_add_f32 v[38:39], v[232:233], v[28:29]
	v_pk_add_f32 v[26:27], v[26:27], v[60:61] neg_lo:[0,1] neg_hi:[0,1]
	v_pk_add_f32 v[12:13], v[12:13], v[40:41]
	v_pk_mul_f32 v[4:5], v[4:5], s[8:9]
	v_mov_b32_e32 v21, v33
	v_pk_mul_f32 v[16:17], v[16:17], s[16:17]
	v_pk_mul_f32 v[32:33], v[12:13], s[0:1] op_sel_hi:[1,0]
	v_pk_fma_f32 v[28:29], v[28:29], s[10:11], v[38:39] op_sel_hi:[1,0,1] neg_lo:[1,0,0] neg_hi:[1,0,0]
	ds_write2_b64 v36, v[8:9], v[20:21] offset0:4 offset1:5
	v_pk_fma_f32 v[8:9], v[6:7], s[14:15], v[4:5]
	v_pk_fma_f32 v[20:21], v[26:27], s[12:13], v[16:17]
	v_pk_add_f32 v[8:9], v[8:9], v[28:29]
	v_pk_add_f32 v[20:21], v[32:33], v[20:21] op_sel:[1,0] op_sel_hi:[0,1]
	v_mov_b32_e32 v31, v37
	v_pk_add_f32 v[32:33], v[8:9], v[20:21]
	v_pk_add_f32 v[8:9], v[8:9], v[20:21] neg_lo:[0,1] neg_hi:[0,1]
	v_pk_add_f32 v[20:21], v[44:45], v[40:41] neg_lo:[0,1] neg_hi:[0,1]
	ds_write_b64 v36, v[30:31] offset:48
	v_mov_b32_e32 v30, v54
	v_mov_b32_e32 v31, v47
	v_accvgpr_read_b32 v40, a35
	v_pk_add_f32 v[14:15], v[22:23], v[14:15] neg_lo:[0,1] neg_hi:[0,1]
	v_pk_mul_f32 v[6:7], v[6:7], s[14:15]
	v_pk_mul_f32 v[22:23], v[26:27], s[12:13]
	ds_write2_b64 v40, v[48:49], v[30:31] offset1:1
	v_mov_b32_e32 v30, v52
	v_mov_b32_e32 v31, v25
	;; [unrolled: 1-line block ×6, first 2 shown]
	ds_write2_b64 v40, v[30:31], v[36:37] offset0:2 offset1:3
	v_mov_b32_e32 v30, v17
	v_mov_b32_e32 v31, v22
	;; [unrolled: 1-line block ×5, first 2 shown]
	v_pk_fma_f32 v[26:27], v[14:15], s[20:21], v[26:27] op_sel_hi:[1,0,1] neg_lo:[1,0,1] neg_hi:[1,0,1]
	v_pk_fma_f32 v[30:31], v[20:21], s[18:19], v[30:31] op_sel_hi:[1,0,1] neg_lo:[1,0,1] neg_hi:[1,0,1]
	v_pk_fma_f32 v[4:5], v[14:15], s[20:21], v[4:5] op_sel_hi:[1,0,1] neg_lo:[0,0,1] neg_hi:[0,0,1]
	v_pk_fma_f32 v[6:7], v[20:21], s[18:19], v[6:7] op_sel_hi:[1,0,1] neg_lo:[0,0,1] neg_hi:[0,0,1]
	v_pk_add_f32 v[26:27], v[26:27], v[28:29]
	v_pk_fma_f32 v[30:31], v[12:13], s[0:1], v[30:31] op_sel_hi:[1,0,1]
	v_pk_add_f32 v[4:5], v[4:5], v[28:29]
	v_pk_fma_f32 v[6:7], v[12:13], s[0:1], v[6:7] op_sel_hi:[1,0,1]
	v_pk_add_f32 v[36:37], v[26:27], v[30:31] op_sel:[0,1] op_sel_hi:[1,0]
	v_pk_add_f32 v[26:27], v[26:27], v[30:31] op_sel:[0,1] op_sel_hi:[1,0] neg_lo:[0,1] neg_hi:[0,1]
	v_pk_add_f32 v[12:13], v[4:5], v[6:7] op_sel:[0,1] op_sel_hi:[1,0] neg_lo:[0,1] neg_hi:[0,1]
	v_pk_add_f32 v[4:5], v[4:5], v[6:7] op_sel:[0,1] op_sel_hi:[1,0]
	v_mov_b32_e32 v11, v19
	v_mov_b32_e32 v25, v53
	;; [unrolled: 1-line block ×5, first 2 shown]
	v_accvgpr_read_b32 v20, a9
	ds_write2_b64 v40, v[10:11], v[24:25] offset0:4 offset1:5
	v_pk_add_f32 v[6:7], v[216:217], v[2:3]
	v_pk_add_f32 v[10:11], v[188:189], v[226:227]
	ds_write_b64 v40, v[46:47] offset:48
	ds_write2_b64 v20, v[38:39], v[14:15] offset1:1
	v_mov_b32_e32 v14, v36
	v_mov_b32_e32 v15, v27
	;; [unrolled: 1-line block ×4, first 2 shown]
	ds_write2_b64 v20, v[14:15], v[16:17] offset0:2 offset1:3
	v_pk_add_f32 v[14:15], v[210:211], v[184:185]
	v_pk_add_f32 v[16:17], v[10:11], v[6:7]
	v_mov_b32_e32 v5, v13
	v_pk_add_f32 v[16:17], v[14:15], v[16:17]
	v_mov_b32_e32 v27, v37
	v_mov_b32_e32 v9, v33
	v_pk_add_f32 v[18:19], v[192:193], v[16:17]
	ds_write2_b64 v20, v[4:5], v[26:27] offset0:4 offset1:5
	ds_write_b64 v20, v[8:9] offset:48
	v_pk_add_f32 v[2:3], v[216:217], v[2:3] neg_lo:[0,1] neg_hi:[0,1]
	v_pk_add_f32 v[4:5], v[188:189], v[226:227] neg_lo:[0,1] neg_hi:[0,1]
	;; [unrolled: 1-line block ×5, first 2 shown]
	v_pk_add_f32 v[20:21], v[8:9], v[4:5]
	v_pk_add_f32 v[22:23], v[2:3], v[8:9] neg_lo:[0,1] neg_hi:[0,1]
	v_pk_add_f32 v[24:25], v[4:5], v[2:3] neg_lo:[0,1] neg_hi:[0,1]
	v_pk_fma_f32 v[16:17], v[16:17], s[10:11], v[18:19] op_sel_hi:[1,0,1] neg_lo:[1,0,0] neg_hi:[1,0,0]
	v_pk_add_f32 v[10:11], v[14:15], v[10:11] neg_lo:[0,1] neg_hi:[0,1]
	v_pk_add_f32 v[4:5], v[8:9], v[4:5] neg_lo:[0,1] neg_hi:[0,1]
	s_mov_b32 s10, s13
	v_pk_add_f32 v[2:3], v[20:21], v[2:3]
	v_pk_mul_f32 v[6:7], v[6:7], s[14:15] op_sel_hi:[1,0]
	v_pk_mul_f32 v[20:21], v[12:13], s[20:21] op_sel_hi:[1,0]
	;; [unrolled: 1-line block ×6, first 2 shown]
	v_pk_add_f32 v[20:21], v[6:7], v[20:21] op_sel:[1,1] op_sel_hi:[0,0] neg_lo:[1,1] neg_hi:[1,1]
	v_pk_fma_f32 v[6:7], v[10:11], s[8:9], v[6:7] op_sel_hi:[1,0,1]
	v_pk_fma_f32 v[10:11], v[12:13], s[20:21], v[14:15] op_sel_hi:[1,0,1] neg_lo:[0,0,1] neg_hi:[0,0,1]
	v_pk_fma_f32 v[4:5], v[4:5], s[10:11], v[26:27] op_sel_hi:[1,0,1]
	v_pk_fma_f32 v[8:9], v[24:25], s[18:19], v[8:9] op_sel_hi:[1,0,1] neg_lo:[0,0,1] neg_hi:[0,0,1]
	v_pk_fma_f32 v[22:23], v[22:23], s[12:13], v[28:29] op_sel_hi:[1,0,1] neg_lo:[1,0,1] neg_hi:[1,0,1]
	v_pk_add_f32 v[10:11], v[10:11], v[16:17]
	v_pk_fma_f32 v[8:9], v[2:3], s[0:1], v[8:9] op_sel_hi:[1,0,1]
	v_pk_add_f32 v[6:7], v[6:7], v[16:17]
	v_pk_fma_f32 v[4:5], v[2:3], s[0:1], v[4:5] op_sel_hi:[1,0,1]
	v_pk_add_f32 v[20:21], v[20:21], v[16:17] op_sel:[0,1] op_sel_hi:[1,0]
	v_pk_fma_f32 v[22:23], v[2:3], s[0:1], v[22:23] op_sel_hi:[1,0,1]
	v_pk_add_f32 v[12:13], v[10:11], v[8:9] op_sel:[0,1] op_sel_hi:[1,0] neg_lo:[0,1] neg_hi:[0,1]
	v_pk_add_f32 v[8:9], v[10:11], v[8:9] op_sel:[0,1] op_sel_hi:[1,0]
	v_pk_add_f32 v[10:11], v[6:7], v[4:5] op_sel:[0,1] op_sel_hi:[1,0] neg_lo:[0,1] neg_hi:[0,1]
	v_pk_add_f32 v[2:3], v[6:7], v[4:5] op_sel:[0,1] op_sel_hi:[1,0]
	v_pk_add_f32 v[28:29], v[20:21], v[22:23]
	v_pk_add_f32 v[20:21], v[20:21], v[22:23] neg_lo:[0,1] neg_hi:[0,1]
	v_mov_b32_e32 v4, v2
	v_mov_b32_e32 v5, v11
	v_accvgpr_read_b32 v2, a179
	ds_write2_b64 v2, v[18:19], v[4:5] offset1:1
	v_mov_b32_e32 v4, v29
	v_mov_b32_e32 v5, v20
	;; [unrolled: 1-line block ×4, first 2 shown]
	ds_write2_b64 v2, v[4:5], v[6:7] offset0:2 offset1:3
	v_mov_b32_e32 v9, v13
	v_mov_b32_e32 v4, v21
	;; [unrolled: 1-line block ×4, first 2 shown]
	ds_write2_b64 v2, v[8:9], v[4:5] offset0:4 offset1:5
	ds_write_b64 v2, v[10:11] offset:48
	s_waitcnt lgkmcnt(0)
	; wave barrier
	s_waitcnt lgkmcnt(0)
	ds_read2_b64 v[78:81], v114 offset0:35 offset1:52
	ds_read2_b64 v[74:77], v114 offset0:70 offset1:87
	;; [unrolled: 1-line block ×13, first 2 shown]
	ds_read2_b64 v[184:187], v114 offset1:17
	ds_read2_b64 v[44:47], v114 offset0:140 offset1:157
	ds_read2_b64 v[52:55], v114 offset0:175 offset1:192
	;; [unrolled: 1-line block ×3, first 2 shown]
	v_accvgpr_read_b32 v60, a164
	v_accvgpr_read_b32 v62, a166
	v_accvgpr_write_b32 a215, v139
	v_accvgpr_read_b32 v61, a165
	v_mov_b32_e32 v63, v62
	v_accvgpr_read_b32 v64, a176
	v_accvgpr_read_b32 v65, a176
	v_mov_b32_e32 v1, v0
	v_accvgpr_read_b32 v73, a184
	v_accvgpr_read_b32 v66, a178
	;; [unrolled: 1-line block ×5, first 2 shown]
	v_accvgpr_write_b32 a214, v138
	v_accvgpr_write_b32 a213, v137
	;; [unrolled: 1-line block ×17, first 2 shown]
	s_and_saveexec_b64 s[0:1], vcc
	s_cbranch_execz .LBB0_7
; %bb.6:
	v_accvgpr_read_b32 v3, a185
	v_add_u32_e32 v2, 0x800, v3
	ds_read_b64 a[74:75], v114 offset:272
	ds_read2_b64 a[108:111], v3 offset0:69 offset1:104
	ds_read2_b64 a[124:127], v3 offset0:139 offset1:174
	;; [unrolled: 1-line block ×6, first 2 shown]
	v_add_u32_e32 v2, 0xc00, v3
	ds_read2_b64 a[136:139], v2 offset0:105 offset1:140
	v_add_u32_e32 v2, 0x1000, v3
	ds_read2_b64 a[112:115], v2 offset0:47 offset1:82
.LBB0_7:
	s_or_b64 exec, exec, s[0:1]
	s_waitcnt lgkmcnt(11)
	v_mov_b64_e32 v[8:9], v[6:7]
	v_mov_b64_e32 v[6:7], v[4:5]
	;; [unrolled: 1-line block ×3, first 2 shown]
	v_pk_mul_f32 v[0:1], v[0:1], v[244:245]
	v_pk_mul_f32 v[4:5], v[72:73], v[6:7]
	v_mov_b64_e32 v[22:23], v[6:7]
	v_accvgpr_write_b32 a51, v25
	v_pk_fma_f32 v[6:7], v[168:169], v[244:245], v[0:1] op_sel:[0,0,1] op_sel_hi:[1,1,0]
	v_pk_fma_f32 v[0:1], v[168:169], v[244:245], v[0:1] op_sel:[0,0,1] op_sel_hi:[1,1,0] neg_lo:[0,0,1] neg_hi:[0,0,1]
	v_pk_fma_f32 v[8:9], v[170:171], v[22:23], v[4:5] op_sel:[0,0,1] op_sel_hi:[1,1,0]
	v_pk_fma_f32 v[4:5], v[170:171], v[22:23], v[4:5] op_sel:[0,0,1] op_sel_hi:[1,1,0] neg_lo:[0,0,1] neg_hi:[0,0,1]
	v_accvgpr_write_b32 a50, v24
	s_waitcnt lgkmcnt(9)
	v_mov_b64_e32 v[24:25], v[14:15]
	s_waitcnt lgkmcnt(8)
	v_mov_b64_e32 v[244:245], v[20:21]
	v_mov_b64_e32 v[22:23], v[12:13]
	;; [unrolled: 1-line block ×3, first 2 shown]
	v_pk_mul_f32 v[12:13], v[66:67], v[22:23]
	v_pk_mul_f32 v[18:19], v[92:93], v[242:243]
	v_pk_fma_f32 v[16:17], v[174:175], v[22:23], v[12:13] op_sel:[0,0,1] op_sel_hi:[1,1,0]
	v_pk_fma_f32 v[12:13], v[174:175], v[22:23], v[12:13] op_sel:[0,0,1] op_sel_hi:[1,1,0] neg_lo:[0,0,1] neg_hi:[0,0,1]
	v_pk_fma_f32 v[22:23], v[176:177], v[242:243], v[18:19] op_sel:[0,0,1] op_sel_hi:[1,1,0]
	v_pk_fma_f32 v[18:19], v[176:177], v[242:243], v[18:19] op_sel:[0,0,1] op_sel_hi:[1,1,0] neg_lo:[0,0,1] neg_hi:[0,0,1]
	s_waitcnt lgkmcnt(6)
	v_pk_mul_f32 v[26:27], v[50:51], v[40:41]
	s_waitcnt lgkmcnt(5)
	v_mov_b64_e32 v[242:243], v[30:31]
	v_accvgpr_write_b32 a83, v43
	v_mov_b64_e32 v[240:241], v[28:29]
	v_pk_fma_f32 v[30:31], v[180:181], v[40:41], v[26:27] op_sel:[0,0,1] op_sel_hi:[1,1,0]
	v_pk_fma_f32 v[26:27], v[180:181], v[40:41], v[26:27] op_sel:[0,0,1] op_sel_hi:[1,1,0] neg_lo:[0,0,1] neg_hi:[0,0,1]
	v_accvgpr_write_b32 a82, v42
	v_accvgpr_read_b32 v40, a172
	v_accvgpr_read_b32 v41, a173
	s_waitcnt lgkmcnt(4)
	v_mov_b64_e32 v[50:51], v[38:39]
	v_pk_mul_f32 v[10:11], v[34:35], v[236:237]
	v_accvgpr_read_b32 v42, a174
	v_accvgpr_read_b32 v43, a175
	v_pk_mul_f32 v[34:35], v[40:41], v[36:37] op_sel:[1,0]
	v_mov_b64_e32 v[48:49], v[36:37]
	s_waitcnt lgkmcnt(2)
	v_accvgpr_write_b32 a175, v47
	v_pk_fma_f32 v[36:37], v[40:41], v[48:49], v[34:35] op_sel:[0,0,1] op_sel_hi:[1,1,0]
	v_pk_fma_f32 v[34:35], v[40:41], v[48:49], v[34:35] op_sel:[0,0,1] op_sel_hi:[0,1,0] neg_lo:[0,0,1] neg_hi:[0,0,1]
	v_accvgpr_write_b32 a174, v46
	v_accvgpr_read_b32 v46, a168
	v_pk_mul_f32 v[38:39], v[42:43], v[44:45] op_sel:[1,0]
	v_accvgpr_read_b32 v47, a169
	v_pk_fma_f32 v[40:41], v[42:43], v[44:45], v[38:39] op_sel:[0,0,1] op_sel_hi:[1,1,0]
	v_pk_fma_f32 v[38:39], v[42:43], v[44:45], v[38:39] op_sel:[0,0,1] op_sel_hi:[0,1,0] neg_lo:[0,0,1] neg_hi:[0,0,1]
	v_accvgpr_read_b32 v48, a170
	v_accvgpr_read_b32 v49, a171
	s_waitcnt lgkmcnt(1)
	v_pk_mul_f32 v[42:43], v[46:47], v[52:53] op_sel:[1,0]
	v_accvgpr_write_b32 a173, v51
	v_pk_fma_f32 v[44:45], v[46:47], v[52:53], v[42:43] op_sel:[0,0,1] op_sel_hi:[1,1,0]
	v_pk_fma_f32 v[42:43], v[46:47], v[52:53], v[42:43] op_sel:[0,0,1] op_sel_hi:[0,1,0] neg_lo:[0,0,1] neg_hi:[0,0,1]
	s_waitcnt lgkmcnt(0)
	v_pk_mul_f32 v[46:47], v[48:49], v[232:233] op_sel:[1,0]
	v_accvgpr_write_b32 a172, v50
	v_pk_fma_f32 v[52:53], v[48:49], v[232:233], v[46:47] op_sel:[0,0,1] op_sel_hi:[1,1,0]
	v_pk_fma_f32 v[46:47], v[48:49], v[232:233], v[46:47] op_sel:[0,0,1] op_sel_hi:[0,1,0] neg_lo:[0,0,1] neg_hi:[0,0,1]
	v_pk_mul_f32 v[48:49], v[64:65], v[86:87]
	v_accvgpr_read_b32 v64, a158
	v_accvgpr_read_b32 v65, a159
	v_accvgpr_write_b32 a81, v55
	v_pk_mul_f32 v[50:51], v[60:61], v[82:83] op_sel:[1,0]
	v_accvgpr_read_b32 v66, a160
	v_accvgpr_read_b32 v67, a161
	v_pk_mul_f32 v[58:59], v[64:65], v[78:79] op_sel:[1,0]
	v_accvgpr_write_b32 a80, v54
	v_pk_fma_f32 v[54:55], v[62:63], v[86:87], v[48:49] op_sel:[0,0,1] op_sel_hi:[1,1,0]
	v_pk_fma_f32 v[48:49], v[62:63], v[86:87], v[48:49] op_sel:[0,0,1] op_sel_hi:[1,1,0] neg_lo:[0,0,1] neg_hi:[0,0,1]
	v_pk_fma_f32 v[56:57], v[60:61], v[82:83], v[50:51] op_sel:[0,0,1] op_sel_hi:[1,1,0]
	v_pk_fma_f32 v[50:51], v[60:61], v[82:83], v[50:51] op_sel:[0,0,1] op_sel_hi:[0,1,0] neg_lo:[0,0,1] neg_hi:[0,0,1]
	;; [unrolled: 2-line block ×3, first 2 shown]
	v_pk_mul_f32 v[62:63], v[66:67], v[74:75] op_sel:[1,0]
	v_mov_b32_e32 v61, v59
	v_pk_fma_f32 v[64:65], v[66:67], v[74:75], v[62:63] op_sel:[0,0,1] op_sel_hi:[1,1,0]
	v_pk_fma_f32 v[62:63], v[66:67], v[74:75], v[62:63] op_sel:[0,0,1] op_sel_hi:[0,1,0] neg_lo:[0,0,1] neg_hi:[0,0,1]
	v_mov_b32_e32 v7, v1
	v_mov_b32_e32 v65, v63
	v_pk_add_f32 v[0:1], v[184:185], v[60:61]
	v_mov_b32_e32 v37, v35
	v_pk_add_f32 v[0:1], v[0:1], v[64:65]
	;; [unrolled: 2-line block ×7, first 2 shown]
	v_pk_fma_f32 v[14:15], v[172:173], v[236:237], v[10:11] op_sel:[0,0,1] op_sel_hi:[1,1,0]
	v_pk_add_f32 v[0:1], v[0:1], v[54:55]
	v_pk_fma_f32 v[10:11], v[172:173], v[236:237], v[10:11] op_sel:[0,0,1] op_sel_hi:[1,1,0] neg_lo:[0,0,1] neg_hi:[0,0,1]
	v_mov_b32_e32 v9, v5
	v_pk_add_f32 v[0:1], v[0:1], v[6:7]
	v_mov_b32_e32 v15, v11
	v_pk_add_f32 v[0:1], v[0:1], v[8:9]
	v_accvgpr_write_b32 a31, v25
	v_pk_mul_f32 v[20:21], v[68:69], v[250:251]
	v_mov_b32_e32 v17, v13
	v_pk_add_f32 v[0:1], v[0:1], v[14:15]
	v_accvgpr_write_b32 a30, v24
	v_pk_fma_f32 v[24:25], v[178:179], v[250:251], v[20:21] op_sel:[0,0,1] op_sel_hi:[1,1,0]
	v_pk_fma_f32 v[20:21], v[178:179], v[250:251], v[20:21] op_sel:[0,0,1] op_sel_hi:[1,1,0] neg_lo:[0,0,1] neg_hi:[0,0,1]
	v_pk_mul_f32 v[28:29], v[70:71], v[240:241]
	v_mov_b32_e32 v23, v19
	v_pk_add_f32 v[0:1], v[0:1], v[16:17]
	v_pk_fma_f32 v[32:33], v[182:183], v[240:241], v[28:29] op_sel:[0,0,1] op_sel_hi:[1,1,0]
	v_pk_fma_f32 v[28:29], v[182:183], v[240:241], v[28:29] op_sel:[0,0,1] op_sel_hi:[1,1,0] neg_lo:[0,0,1] neg_hi:[0,0,1]
	v_mov_b32_e32 v25, v21
	v_pk_add_f32 v[0:1], v[0:1], v[22:23]
	v_mov_b32_e32 v31, v27
	v_mov_b32_e32 v33, v29
	v_pk_add_f32 v[0:1], v[0:1], v[24:25]
	v_pk_add_f32 v[228:229], v[60:61], v[32:33] neg_lo:[0,1] neg_hi:[0,1]
	v_pk_add_f32 v[0:1], v[0:1], v[30:31]
	s_mov_b32 s18, 0xbeb8f4ab
	v_pk_add_f32 v[4:5], v[0:1], v[32:33]
	v_pk_add_f32 v[216:217], v[60:61], v[32:33]
	v_pk_add_f32 v[254:255], v[64:65], v[30:31] neg_lo:[0,1] neg_hi:[0,1]
	s_mov_b32 s12, 0x3f6eb680
	v_pk_mul_f32 v[0:1], v[228:229], s[18:19] op_sel_hi:[1,0]
	s_mov_b32 s30, 0xbf2c7751
	v_pk_add_f32 v[240:241], v[64:65], v[30:31]
	v_pk_fma_f32 v[10:11], v[216:217], s[12:13], v[0:1] op_sel:[0,0,1] op_sel_hi:[1,0,0]
	v_pk_fma_f32 v[0:1], v[216:217], s[12:13], v[0:1] op_sel:[0,0,1] op_sel_hi:[1,0,0] neg_lo:[0,0,1] neg_hi:[0,0,1]
	s_mov_b32 s0, 0x3f3d2fb0
	v_pk_mul_f32 v[12:13], v[254:255], s[30:31] op_sel_hi:[1,0]
	v_accvgpr_write_b32 a7, v11
	v_mov_b32_e32 v11, v1
	v_pk_fma_f32 v[2:3], v[240:241], s[0:1], v[12:13] op_sel:[0,0,1] op_sel_hi:[1,0,0]
	v_pk_fma_f32 v[34:35], v[240:241], s[0:1], v[12:13] op_sel:[0,0,1] op_sel_hi:[1,0,0] neg_lo:[0,0,1] neg_hi:[0,0,1]
	v_pk_add_f32 v[10:11], v[184:185], v[10:11]
	v_mov_b32_e32 v12, v2
	v_mov_b32_e32 v13, v35
	v_pk_add_f32 v[48:49], v[36:37], v[24:25] neg_lo:[0,1] neg_hi:[0,1]
	s_mov_b32 s42, 0xbf65296c
	v_pk_add_f32 v[10:11], v[12:13], v[10:11]
	v_pk_add_f32 v[32:33], v[36:37], v[24:25]
	s_mov_b32 s8, 0x3ee437d1
	v_pk_mul_f32 v[12:13], v[48:49], s[42:43] op_sel_hi:[1,0]
	v_accvgpr_write_b32 a159, v81
	v_accvgpr_write_b32 a9, v3
	v_pk_fma_f32 v[2:3], v[32:33], s[8:9], v[12:13] op_sel:[0,0,1] op_sel_hi:[1,0,0]
	v_accvgpr_write_b32 a158, v80
	v_pk_fma_f32 v[80:81], v[32:33], s[8:9], v[12:13] op_sel:[0,0,1] op_sel_hi:[1,0,0] neg_lo:[0,0,1] neg_hi:[0,0,1]
	v_mov_b32_e32 v12, v2
	v_mov_b32_e32 v13, v81
	v_pk_add_f32 v[66:67], v[40:41], v[22:23] neg_lo:[0,1] neg_hi:[0,1]
	s_mov_b32 s28, 0xbf7ee86f
	v_pk_add_f32 v[10:11], v[12:13], v[10:11]
	v_pk_add_f32 v[64:65], v[40:41], v[22:23]
	s_mov_b32 s10, 0x3dbcf732
	v_pk_mul_f32 v[12:13], v[66:67], s[28:29] op_sel_hi:[1,0]
	v_accvgpr_write_b32 a11, v3
	v_pk_fma_f32 v[2:3], v[64:65], s[10:11], v[12:13] op_sel:[0,0,1] op_sel_hi:[1,0,0]
	v_pk_fma_f32 v[86:87], v[64:65], s[10:11], v[12:13] op_sel:[0,0,1] op_sel_hi:[1,0,0] neg_lo:[0,0,1] neg_hi:[0,0,1]
	v_mov_b32_e32 v12, v2
	v_mov_b32_e32 v13, v87
	v_pk_add_f32 v[70:71], v[44:45], v[16:17] neg_lo:[0,1] neg_hi:[0,1]
	s_mov_b32 s16, 0xbf763a35
	v_accvgpr_write_b32 a169, v89
	v_pk_add_f32 v[10:11], v[12:13], v[10:11]
	v_pk_add_f32 v[60:61], v[44:45], v[16:17]
	s_mov_b32 s14, 0xbe8c1d8e
	v_pk_mul_f32 v[12:13], v[70:71], s[16:17] op_sel_hi:[1,0]
	v_accvgpr_write_b32 a168, v88
	v_accvgpr_write_b32 a13, v3
	v_pk_fma_f32 v[2:3], v[60:61], s[14:15], v[12:13] op_sel:[0,0,1] op_sel_hi:[1,0,0]
	v_pk_fma_f32 v[88:89], v[60:61], s[14:15], v[12:13] op_sel:[0,0,1] op_sel_hi:[1,0,0] neg_lo:[0,0,1] neg_hi:[0,0,1]
	v_mov_b32_e32 v12, v2
	v_mov_b32_e32 v13, v89
	v_pk_add_f32 v[40:41], v[52:53], v[14:15] neg_lo:[0,1] neg_hi:[0,1]
	s_mov_b32 s22, 0xbf4c4adb
	v_pk_add_f32 v[10:11], v[12:13], v[10:11]
	v_pk_add_f32 v[62:63], v[52:53], v[14:15]
	s_mov_b32 s20, 0xbf1a4643
	v_pk_mul_f32 v[12:13], v[40:41], s[22:23] op_sel_hi:[1,0]
	v_pk_add_f32 v[44:45], v[56:57], v[8:9] neg_lo:[0,1] neg_hi:[0,1]
	s_mov_b32 s26, 0xbf06c442
	v_accvgpr_write_b32 a15, v3
	v_pk_fma_f32 v[2:3], v[62:63], s[20:21], v[12:13] op_sel:[0,0,1] op_sel_hi:[1,0,0]
	v_pk_fma_f32 v[92:93], v[62:63], s[20:21], v[12:13] op_sel:[0,0,1] op_sel_hi:[1,0,0] neg_lo:[0,0,1] neg_hi:[0,0,1]
	v_pk_add_f32 v[42:43], v[56:57], v[8:9]
	s_mov_b32 s24, 0xbf59a7d5
	v_pk_mul_f32 v[8:9], v[44:45], s[26:27] op_sel_hi:[1,0]
	v_pk_add_f32 v[52:53], v[54:55], v[6:7] neg_lo:[0,1] neg_hi:[0,1]
	s_mov_b32 s36, 0xbe3c28d5
	v_mov_b32_e32 v12, v2
	v_accvgpr_write_b32 a17, v3
	v_mov_b32_e32 v13, v93
	v_pk_fma_f32 v[2:3], v[42:43], s[24:25], v[8:9] op_sel:[0,0,1] op_sel_hi:[1,0,0]
	v_pk_fma_f32 v[168:169], v[42:43], s[24:25], v[8:9] op_sel:[0,0,1] op_sel_hi:[1,0,0] neg_lo:[0,0,1] neg_hi:[0,0,1]
	v_pk_add_f32 v[46:47], v[54:55], v[6:7]
	s_mov_b32 s34, 0xbf7ba420
	v_pk_mul_f32 v[6:7], v[52:53], s[36:37] op_sel_hi:[1,0]
	v_pk_add_f32 v[10:11], v[12:13], v[10:11]
	v_mov_b32_e32 v8, v2
	v_accvgpr_write_b32 a19, v3
	v_mov_b32_e32 v9, v169
	v_pk_fma_f32 v[2:3], v[46:47], s[34:35], v[6:7] op_sel:[0,0,1] op_sel_hi:[1,0,0]
	v_pk_fma_f32 v[82:83], v[46:47], s[34:35], v[6:7] op_sel:[0,0,1] op_sel_hi:[1,0,0] neg_lo:[0,0,1] neg_hi:[0,0,1]
	v_pk_add_f32 v[8:9], v[8:9], v[10:11]
	v_mov_b32_e32 v6, v2
	v_mov_b32_e32 v7, v83
	v_pk_add_f32 v[6:7], v[6:7], v[8:9]
	v_accvgpr_read_b32 v115, a167
	s_waitcnt lgkmcnt(0)
	; wave barrier
	ds_write2_b64 v115, v[4:5], v[6:7] offset1:7
	v_pk_mul_f32 v[4:5], v[228:229], s[30:31] op_sel_hi:[1,0]
	v_accvgpr_write_b32 a21, v3
	v_pk_fma_f32 v[2:3], v[216:217], s[0:1], v[4:5] op_sel:[0,0,1] op_sel_hi:[1,0,0]
	v_pk_fma_f32 v[8:9], v[216:217], s[0:1], v[4:5] op_sel:[0,0,1] op_sel_hi:[1,0,0] neg_lo:[0,0,1] neg_hi:[0,0,1]
	v_pk_mul_f32 v[6:7], v[254:255], s[28:29] op_sel_hi:[1,0]
	v_mov_b32_e32 v4, v2
	v_mov_b32_e32 v1, v3
	;; [unrolled: 1-line block ×3, first 2 shown]
	v_pk_fma_f32 v[2:3], v[240:241], s[10:11], v[6:7] op_sel:[0,0,1] op_sel_hi:[1,0,0]
	v_pk_fma_f32 v[12:13], v[240:241], s[10:11], v[6:7] op_sel:[0,0,1] op_sel_hi:[1,0,0] neg_lo:[0,0,1] neg_hi:[0,0,1]
	v_pk_add_f32 v[4:5], v[184:185], v[4:5]
	v_mov_b32_e32 v6, v2
	v_mov_b32_e32 v7, v13
	v_pk_add_f32 v[4:5], v[6:7], v[4:5]
	v_pk_mul_f32 v[6:7], v[48:49], s[22:23] op_sel_hi:[1,0]
	v_mov_b32_e32 v35, v3
	v_pk_fma_f32 v[2:3], v[32:33], s[20:21], v[6:7] op_sel:[0,0,1] op_sel_hi:[1,0,0]
	v_pk_fma_f32 v[18:19], v[32:33], s[20:21], v[6:7] op_sel:[0,0,1] op_sel_hi:[1,0,0] neg_lo:[0,0,1] neg_hi:[0,0,1]
	v_mov_b32_e32 v6, v2
	v_mov_b32_e32 v7, v19
	v_pk_add_f32 v[4:5], v[6:7], v[4:5]
	v_pk_mul_f32 v[6:7], v[66:67], s[36:37] op_sel_hi:[1,0]
	v_mov_b32_e32 v81, v3
	v_pk_fma_f32 v[2:3], v[64:65], s[34:35], v[6:7] op_sel:[0,0,1] op_sel_hi:[1,0,0]
	v_pk_fma_f32 v[22:23], v[64:65], s[34:35], v[6:7] op_sel:[0,0,1] op_sel_hi:[1,0,0] neg_lo:[0,0,1] neg_hi:[0,0,1]
	v_mov_b32_e32 v6, v2
	v_mov_b32_e32 v7, v23
	s_mov_b32 s50, 0x3f06c442
	v_pk_add_f32 v[4:5], v[6:7], v[4:5]
	v_pk_mul_f32 v[6:7], v[70:71], s[50:51] op_sel_hi:[1,0]
	v_mov_b32_e32 v83, v3
	v_pk_fma_f32 v[2:3], v[60:61], s[24:25], v[6:7] op_sel:[0,0,1] op_sel_hi:[1,0,0]
	v_pk_fma_f32 v[26:27], v[60:61], s[24:25], v[6:7] op_sel:[0,0,1] op_sel_hi:[1,0,0] neg_lo:[0,0,1] neg_hi:[0,0,1]
	v_mov_b32_e32 v6, v2
	v_mov_b32_e32 v7, v27
	s_mov_b32 s46, 0x3f763a35
	v_pk_add_f32 v[4:5], v[6:7], v[4:5]
	v_pk_mul_f32 v[6:7], v[40:41], s[46:47] op_sel_hi:[1,0]
	s_mov_b32 s38, 0x3f65296c
	v_pk_fma_f32 v[172:173], v[62:63], s[14:15], v[6:7] op_sel:[0,0,1] op_sel_hi:[1,0,0]
	v_pk_fma_f32 v[30:31], v[62:63], s[14:15], v[6:7] op_sel:[0,0,1] op_sel_hi:[1,0,0] neg_lo:[0,0,1] neg_hi:[0,0,1]
	v_mov_b32_e32 v6, v172
	v_mov_b32_e32 v7, v31
	v_accvgpr_write_b32 a161, v85
	v_pk_add_f32 v[4:5], v[6:7], v[4:5]
	v_pk_mul_f32 v[6:7], v[44:45], s[38:39] op_sel_hi:[1,0]
	v_accvgpr_write_b32 a160, v84
	v_pk_fma_f32 v[84:85], v[42:43], s[8:9], v[6:7] op_sel:[0,0,1] op_sel_hi:[1,0,0]
	v_pk_fma_f32 v[176:177], v[42:43], s[8:9], v[6:7] op_sel:[0,0,1] op_sel_hi:[1,0,0] neg_lo:[0,0,1] neg_hi:[0,0,1]
	v_mov_b32_e32 v6, v84
	v_mov_b32_e32 v7, v177
	s_mov_b32 s40, 0x3eb8f4ab
	v_pk_add_f32 v[4:5], v[6:7], v[4:5]
	v_pk_mul_f32 v[6:7], v[52:53], s[40:41] op_sel_hi:[1,0]
	v_pk_mul_f32 v[36:37], v[254:255], s[22:23] op_sel_hi:[1,0]
	v_pk_fma_f32 v[50:51], v[46:47], s[12:13], v[6:7] op_sel:[0,0,1] op_sel_hi:[1,0,0]
	v_pk_fma_f32 v[180:181], v[46:47], s[12:13], v[6:7] op_sel:[0,0,1] op_sel_hi:[1,0,0] neg_lo:[0,0,1] neg_hi:[0,0,1]
	v_mov_b32_e32 v6, v50
	v_mov_b32_e32 v7, v181
	v_pk_add_f32 v[4:5], v[6:7], v[4:5]
	v_pk_mul_f32 v[6:7], v[228:229], s[42:43] op_sel_hi:[1,0]
	v_pk_fma_f32 v[196:197], v[240:241], s[20:21], v[36:37] op_sel:[0,0,1] op_sel_hi:[1,0,0]
	v_pk_fma_f32 v[188:189], v[216:217], s[8:9], v[6:7] op_sel:[0,0,1] op_sel_hi:[1,0,0]
	v_pk_fma_f32 v[182:183], v[216:217], s[8:9], v[6:7] op_sel:[0,0,1] op_sel_hi:[1,0,0] neg_lo:[0,0,1] neg_hi:[0,0,1]
	v_mov_b32_e32 v6, v188
	v_mov_b32_e32 v7, v183
	v_pk_fma_f32 v[192:193], v[240:241], s[20:21], v[36:37] op_sel:[0,0,1] op_sel_hi:[1,0,0] neg_lo:[0,0,1] neg_hi:[0,0,1]
	v_pk_add_f32 v[6:7], v[184:185], v[6:7]
	v_mov_b32_e32 v36, v196
	v_mov_b32_e32 v37, v193
	s_mov_b32 s54, 0x3e3c28d5
	v_pk_add_f32 v[6:7], v[36:37], v[6:7]
	v_pk_mul_f32 v[36:37], v[48:49], s[54:55] op_sel_hi:[1,0]
	s_mov_b32 s44, 0x3f2c7751
	v_pk_fma_f32 v[200:201], v[32:33], s[34:35], v[36:37] op_sel:[0,0,1] op_sel_hi:[1,0,0]
	v_pk_fma_f32 v[204:205], v[32:33], s[34:35], v[36:37] op_sel:[0,0,1] op_sel_hi:[1,0,0] neg_lo:[0,0,1] neg_hi:[0,0,1]
	v_mov_b32_e32 v36, v200
	v_mov_b32_e32 v37, v205
	v_pk_add_f32 v[6:7], v[36:37], v[6:7]
	v_pk_mul_f32 v[36:37], v[66:67], s[46:47] op_sel_hi:[1,0]
	v_mov_b64_e32 v[232:233], v[76:77]
	v_pk_fma_f32 v[208:209], v[64:65], s[14:15], v[36:37] op_sel:[0,0,1] op_sel_hi:[1,0,0]
	v_pk_fma_f32 v[212:213], v[64:65], s[14:15], v[36:37] op_sel:[0,0,1] op_sel_hi:[1,0,0] neg_lo:[0,0,1] neg_hi:[0,0,1]
	v_mov_b32_e32 v36, v208
	v_mov_b32_e32 v37, v213
	v_pk_add_f32 v[6:7], v[36:37], v[6:7]
	v_pk_mul_f32 v[36:37], v[70:71], s[44:45] op_sel_hi:[1,0]
	s_mov_b32 s52, 0x3f4c4adb
	v_pk_fma_f32 v[220:221], v[60:61], s[0:1], v[36:37] op_sel:[0,0,1] op_sel_hi:[1,0,0]
	v_pk_fma_f32 v[224:225], v[60:61], s[0:1], v[36:37] op_sel:[0,0,1] op_sel_hi:[1,0,0] neg_lo:[0,0,1] neg_hi:[0,0,1]
	v_mov_b32_e32 v36, v220
	v_mov_b32_e32 v37, v225
	v_pk_add_f32 v[6:7], v[36:37], v[6:7]
	v_pk_mul_f32 v[36:37], v[40:41], s[18:19] op_sel_hi:[1,0]
	s_mov_b32 s48, 0x3f7ee86f
	v_pk_fma_f32 v[28:29], v[62:63], s[12:13], v[36:37] op_sel:[0,0,1] op_sel_hi:[1,0,0]
	v_pk_fma_f32 v[236:237], v[62:63], s[12:13], v[36:37] op_sel:[0,0,1] op_sel_hi:[1,0,0] neg_lo:[0,0,1] neg_hi:[0,0,1]
	v_mov_b32_e32 v36, v28
	v_mov_b32_e32 v37, v237
	v_pk_add_f32 v[6:7], v[36:37], v[6:7]
	v_pk_mul_f32 v[36:37], v[44:45], s[28:29] op_sel_hi:[1,0]
	v_mov_b32_e32 v87, v3
	v_pk_fma_f32 v[24:25], v[42:43], s[10:11], v[36:37] op_sel:[0,0,1] op_sel_hi:[1,0,0]
	v_pk_fma_f32 v[248:249], v[42:43], s[10:11], v[36:37] op_sel:[0,0,1] op_sel_hi:[1,0,0] neg_lo:[0,0,1] neg_hi:[0,0,1]
	v_mov_b32_e32 v36, v24
	v_mov_b32_e32 v37, v249
	v_pk_add_f32 v[6:7], v[36:37], v[6:7]
	v_pk_mul_f32 v[36:37], v[52:53], s[26:27] op_sel_hi:[1,0]
	v_pk_mul_f32 v[90:91], v[254:255], s[38:39] op_sel_hi:[1,0]
	v_pk_fma_f32 v[38:39], v[46:47], s[24:25], v[36:37] op_sel:[0,0,1] op_sel_hi:[1,0,0]
	v_pk_fma_f32 v[36:37], v[46:47], s[24:25], v[36:37] op_sel:[0,0,1] op_sel_hi:[1,0,0] neg_lo:[0,0,1] neg_hi:[0,0,1]
	v_mov_b32_e32 v54, v38
	v_mov_b32_e32 v55, v37
	v_pk_add_f32 v[6:7], v[54:55], v[6:7]
	ds_write2_b64 v115, v[4:5], v[6:7] offset0:14 offset1:21
	v_pk_mul_f32 v[4:5], v[228:229], s[28:29] op_sel_hi:[1,0]
	v_pk_mul_f32 v[6:7], v[254:255], s[36:37] op_sel_hi:[1,0]
	v_pk_fma_f32 v[56:57], v[216:217], s[10:11], v[4:5] op_sel:[0,0,1] op_sel_hi:[1,0,0]
	v_pk_fma_f32 v[54:55], v[216:217], s[10:11], v[4:5] op_sel:[0,0,1] op_sel_hi:[1,0,0] neg_lo:[0,0,1] neg_hi:[0,0,1]
	v_mov_b32_e32 v4, v56
	v_mov_b32_e32 v5, v55
	v_pk_fma_f32 v[72:73], v[240:241], s[34:35], v[6:7] op_sel:[0,0,1] op_sel_hi:[1,0,0]
	v_pk_fma_f32 v[58:59], v[240:241], s[34:35], v[6:7] op_sel:[0,0,1] op_sel_hi:[1,0,0] neg_lo:[0,0,1] neg_hi:[0,0,1]
	v_pk_add_f32 v[4:5], v[184:185], v[4:5]
	v_mov_b32_e32 v6, v72
	v_mov_b32_e32 v7, v59
	v_pk_add_f32 v[4:5], v[6:7], v[4:5]
	v_pk_mul_f32 v[6:7], v[48:49], s[46:47] op_sel_hi:[1,0]
	v_pk_fma_f32 v[178:179], v[240:241], s[8:9], v[90:91] op_sel:[0,0,1] op_sel_hi:[1,0,0]
	v_pk_fma_f32 v[20:21], v[32:33], s[14:15], v[6:7] op_sel:[0,0,1] op_sel_hi:[1,0,0]
	v_pk_fma_f32 v[74:75], v[32:33], s[14:15], v[6:7] op_sel:[0,0,1] op_sel_hi:[1,0,0] neg_lo:[0,0,1] neg_hi:[0,0,1]
	v_mov_b32_e32 v6, v20
	v_mov_b32_e32 v7, v75
	v_pk_add_f32 v[4:5], v[6:7], v[4:5]
	v_pk_mul_f32 v[6:7], v[66:67], s[40:41] op_sel_hi:[1,0]
	v_pk_fma_f32 v[90:91], v[240:241], s[8:9], v[90:91] op_sel:[0,0,1] op_sel_hi:[1,0,0] neg_lo:[0,0,1] neg_hi:[0,0,1]
	v_pk_fma_f32 v[78:79], v[64:65], s[12:13], v[6:7] op_sel:[0,0,1] op_sel_hi:[1,0,0]
	v_pk_fma_f32 v[76:77], v[64:65], s[12:13], v[6:7] op_sel:[0,0,1] op_sel_hi:[1,0,0] neg_lo:[0,0,1] neg_hi:[0,0,1]
	v_mov_b32_e32 v6, v78
	v_mov_b32_e32 v7, v77
	v_pk_add_f32 v[96:97], v[6:7], v[4:5]
	v_pk_mul_f32 v[4:5], v[70:71], s[42:43] op_sel_hi:[1,0]
	v_mov_b32_e32 v170, v178
	v_pk_fma_f32 v[16:17], v[60:61], s[8:9], v[4:5] op_sel:[0,0,1] op_sel_hi:[1,0,0]
	v_pk_fma_f32 v[4:5], v[60:61], s[8:9], v[4:5] op_sel:[0,0,1] op_sel_hi:[1,0,0] neg_lo:[0,0,1] neg_hi:[0,0,1]
	v_mov_b32_e32 v98, v16
	v_mov_b32_e32 v99, v5
	v_pk_add_f32 v[100:101], v[98:99], v[96:97]
	v_pk_mul_f32 v[98:99], v[40:41], s[26:27] op_sel_hi:[1,0]
	v_mov_b32_e32 v171, v91
	;; [unrolled: 7-line block ×12, first 2 shown]
	v_pk_fma_f32 v[10:11], v[46:47], s[20:21], v[144:145] op_sel:[0,0,1] op_sel_hi:[1,0,0]
	v_pk_fma_f32 v[144:145], v[46:47], s[20:21], v[144:145] op_sel:[0,0,1] op_sel_hi:[1,0,0] neg_lo:[0,0,1] neg_hi:[0,0,1]
	v_mov_b32_e32 v146, v10
	v_mov_b32_e32 v147, v145
	v_pk_add_f32 v[138:139], v[146:147], v[138:139]
	ds_write2_b64 v115, v[136:137], v[138:139] offset0:28 offset1:35
	v_pk_mul_f32 v[136:137], v[228:229], s[22:23] op_sel_hi:[1,0]
	v_pk_mul_f32 v[146:147], v[254:255], s[46:47] op_sel_hi:[1,0]
	v_pk_fma_f32 v[138:139], v[216:217], s[20:21], v[136:137] op_sel:[0,0,1] op_sel_hi:[1,0,0]
	v_pk_fma_f32 v[136:137], v[216:217], s[20:21], v[136:137] op_sel:[0,0,1] op_sel_hi:[1,0,0] neg_lo:[0,0,1] neg_hi:[0,0,1]
	v_mov_b32_e32 v142, v138
	v_mov_b32_e32 v143, v137
	v_pk_fma_f32 v[148:149], v[240:241], s[14:15], v[146:147] op_sel:[0,0,1] op_sel_hi:[1,0,0]
	v_pk_fma_f32 v[146:147], v[240:241], s[14:15], v[146:147] op_sel:[0,0,1] op_sel_hi:[1,0,0] neg_lo:[0,0,1] neg_hi:[0,0,1]
	v_pk_add_f32 v[142:143], v[184:185], v[142:143]
	v_mov_b32_e32 v150, v148
	v_mov_b32_e32 v151, v147
	v_pk_add_f32 v[142:143], v[150:151], v[142:143]
	v_pk_mul_f32 v[150:151], v[48:49], s[18:19] op_sel_hi:[1,0]
	v_mov_b32_e32 v137, v139
	v_pk_fma_f32 v[152:153], v[32:33], s[12:13], v[150:151] op_sel:[0,0,1] op_sel_hi:[1,0,0]
	v_pk_fma_f32 v[150:151], v[32:33], s[12:13], v[150:151] op_sel:[0,0,1] op_sel_hi:[1,0,0] neg_lo:[0,0,1] neg_hi:[0,0,1]
	v_mov_b32_e32 v154, v152
	v_mov_b32_e32 v155, v151
	v_pk_add_f32 v[142:143], v[154:155], v[142:143]
	v_pk_mul_f32 v[154:155], v[66:67], s[26:27] op_sel_hi:[1,0]
	v_mov_b32_e32 v147, v149
	v_pk_fma_f32 v[156:157], v[64:65], s[24:25], v[154:155] op_sel:[0,0,1] op_sel_hi:[1,0,0]
	v_pk_fma_f32 v[154:155], v[64:65], s[24:25], v[154:155] op_sel:[0,0,1] op_sel_hi:[1,0,0] neg_lo:[0,0,1] neg_hi:[0,0,1]
	;; [unrolled: 7-line block ×7, first 2 shown]
	v_mov_b32_e32 v68, v94
	v_mov_b32_e32 v69, v175
	v_pk_add_f32 v[68:69], v[184:185], v[68:69]
	v_mov_b32_e32 v175, v95
	v_pk_add_f32 v[68:69], v[170:171], v[68:69]
	v_pk_mul_f32 v[170:171], v[48:49], s[28:29] op_sel_hi:[1,0]
	v_pk_mul_f32 v[48:49], v[48:49], s[26:27] op_sel_hi:[1,0]
	v_pk_fma_f32 v[190:191], v[32:33], s[10:11], v[170:171] op_sel:[0,0,1] op_sel_hi:[1,0,0]
	v_pk_fma_f32 v[170:171], v[32:33], s[10:11], v[170:171] op_sel:[0,0,1] op_sel_hi:[1,0,0] neg_lo:[0,0,1] neg_hi:[0,0,1]
	v_mov_b32_e32 v140, v190
	v_mov_b32_e32 v141, v171
	v_pk_add_f32 v[68:69], v[140:141], v[68:69]
	v_pk_mul_f32 v[140:141], v[66:67], s[52:53] op_sel_hi:[1,0]
	v_pk_mul_f32 v[66:67], v[66:67], s[44:45] op_sel_hi:[1,0]
	v_pk_fma_f32 v[198:199], v[64:65], s[20:21], v[140:141] op_sel:[0,0,1] op_sel_hi:[1,0,0]
	v_pk_fma_f32 v[140:141], v[64:65], s[20:21], v[140:141] op_sel:[0,0,1] op_sel_hi:[1,0,0] neg_lo:[0,0,1] neg_hi:[0,0,1]
	v_mov_b32_e32 v194, v198
	v_mov_b32_e32 v195, v141
	v_pk_add_f32 v[68:69], v[194:195], v[68:69]
	v_pk_mul_f32 v[194:195], v[70:71], s[18:19] op_sel_hi:[1,0]
	v_mov_b32_e32 v171, v191
	v_pk_fma_f32 v[206:207], v[60:61], s[12:13], v[194:195] op_sel:[0,0,1] op_sel_hi:[1,0,0]
	v_pk_fma_f32 v[194:195], v[60:61], s[12:13], v[194:195] op_sel:[0,0,1] op_sel_hi:[1,0,0] neg_lo:[0,0,1] neg_hi:[0,0,1]
	v_mov_b32_e32 v202, v206
	v_mov_b32_e32 v203, v195
	v_pk_add_f32 v[68:69], v[202:203], v[68:69]
	v_pk_mul_f32 v[202:203], v[40:41], s[36:37] op_sel_hi:[1,0]
	v_pk_mul_f32 v[40:41], v[40:41], s[38:39] op_sel_hi:[1,0]
	v_pk_fma_f32 v[214:215], v[62:63], s[34:35], v[202:203] op_sel:[0,0,1] op_sel_hi:[1,0,0]
	v_pk_fma_f32 v[202:203], v[62:63], s[34:35], v[202:203] op_sel:[0,0,1] op_sel_hi:[1,0,0] neg_lo:[0,0,1] neg_hi:[0,0,1]
	v_mov_b32_e32 v210, v214
	v_mov_b32_e32 v211, v203
	v_pk_add_f32 v[68:69], v[210:211], v[68:69]
	v_pk_mul_f32 v[210:211], v[44:45], s[44:45] op_sel_hi:[1,0]
	v_pk_mul_f32 v[44:45], v[44:45], s[16:17] op_sel_hi:[1,0]
	v_pk_fma_f32 v[222:223], v[42:43], s[0:1], v[210:211] op_sel:[0,0,1] op_sel_hi:[1,0,0]
	v_pk_fma_f32 v[210:211], v[42:43], s[0:1], v[210:211] op_sel:[0,0,1] op_sel_hi:[1,0,0] neg_lo:[0,0,1] neg_hi:[0,0,1]
	v_mov_b32_e32 v218, v222
	v_mov_b32_e32 v219, v211
	v_pk_add_f32 v[68:69], v[218:219], v[68:69]
	v_pk_mul_f32 v[218:219], v[52:53], s[16:17] op_sel_hi:[1,0]
	v_mov_b32_e32 v141, v199
	v_pk_fma_f32 v[230:231], v[46:47], s[14:15], v[218:219] op_sel:[0,0,1] op_sel_hi:[1,0,0]
	v_pk_fma_f32 v[218:219], v[46:47], s[14:15], v[218:219] op_sel:[0,0,1] op_sel_hi:[1,0,0] neg_lo:[0,0,1] neg_hi:[0,0,1]
	v_mov_b32_e32 v226, v230
	v_mov_b32_e32 v227, v219
	v_pk_add_f32 v[68:69], v[226:227], v[68:69]
	ds_write2_b64 v115, v[2:3], v[68:69] offset0:42 offset1:49
	v_pk_mul_f32 v[2:3], v[228:229], s[36:37] op_sel_hi:[1,0]
	v_mov_b32_e32 v195, v207
	v_pk_fma_f32 v[68:69], v[216:217], s[34:35], v[2:3] op_sel:[0,0,1] op_sel_hi:[1,0,0]
	v_pk_fma_f32 v[2:3], v[216:217], s[34:35], v[2:3] op_sel:[0,0,1] op_sel_hi:[1,0,0] neg_lo:[0,0,1] neg_hi:[0,0,1]
	v_pk_mul_f32 v[216:217], v[254:255], s[40:41] op_sel_hi:[1,0]
	v_mov_b32_e32 v228, v68
	v_pk_fma_f32 v[226:227], v[240:241], s[12:13], v[216:217] op_sel:[0,0,1] op_sel_hi:[1,0,0]
	v_pk_fma_f32 v[216:217], v[240:241], s[12:13], v[216:217] op_sel:[0,0,1] op_sel_hi:[1,0,0] neg_lo:[0,0,1] neg_hi:[0,0,1]
	v_mov_b32_e32 v229, v3
	v_pk_add_f32 v[228:229], v[184:185], v[228:229]
	v_mov_b32_e32 v240, v226
	v_mov_b32_e32 v241, v217
	v_pk_add_f32 v[228:229], v[240:241], v[228:229]
	v_pk_fma_f32 v[240:241], v[32:33], s[24:25], v[48:49] op_sel:[0,0,1] op_sel_hi:[1,0,0]
	v_pk_fma_f32 v[32:33], v[32:33], s[24:25], v[48:49] op_sel:[0,0,1] op_sel_hi:[1,0,0] neg_lo:[0,0,1] neg_hi:[0,0,1]
	v_mov_b32_e32 v48, v240
	v_mov_b32_e32 v49, v33
	v_pk_add_f32 v[48:49], v[48:49], v[228:229]
	v_pk_fma_f32 v[228:229], v[64:65], s[0:1], v[66:67] op_sel:[0,0,1] op_sel_hi:[1,0,0]
	v_pk_fma_f32 v[64:65], v[64:65], s[0:1], v[66:67] op_sel:[0,0,1] op_sel_hi:[1,0,0] neg_lo:[0,0,1] neg_hi:[0,0,1]
	v_mov_b32_e32 v66, v228
	v_mov_b32_e32 v67, v65
	v_pk_add_f32 v[48:49], v[66:67], v[48:49]
	v_pk_mul_f32 v[66:67], v[70:71], s[22:23] op_sel_hi:[1,0]
	v_mov_b32_e32 v3, v69
	v_pk_fma_f32 v[70:71], v[60:61], s[20:21], v[66:67] op_sel:[0,0,1] op_sel_hi:[1,0,0]
	v_pk_fma_f32 v[60:61], v[60:61], s[20:21], v[66:67] op_sel:[0,0,1] op_sel_hi:[1,0,0] neg_lo:[0,0,1] neg_hi:[0,0,1]
	v_mov_b32_e32 v66, v70
	v_mov_b32_e32 v67, v61
	v_pk_add_f32 v[48:49], v[66:67], v[48:49]
	v_pk_fma_f32 v[66:67], v[62:63], s[8:9], v[40:41] op_sel:[0,0,1] op_sel_hi:[1,0,0]
	v_pk_fma_f32 v[40:41], v[62:63], s[8:9], v[40:41] op_sel:[0,0,1] op_sel_hi:[1,0,0] neg_lo:[0,0,1] neg_hi:[0,0,1]
	v_mov_b32_e32 v217, v227
	v_pk_add_f32 v[2:3], v[184:185], v[2:3]
	v_mov_b32_e32 v62, v66
	v_mov_b32_e32 v63, v41
	v_pk_add_f32 v[2:3], v[216:217], v[2:3]
	v_mov_b32_e32 v33, v241
	v_pk_add_f32 v[48:49], v[62:63], v[48:49]
	v_pk_fma_f32 v[62:63], v[42:43], s[14:15], v[44:45] op_sel:[0,0,1] op_sel_hi:[1,0,0]
	v_pk_fma_f32 v[42:43], v[42:43], s[14:15], v[44:45] op_sel:[0,0,1] op_sel_hi:[1,0,0] neg_lo:[0,0,1] neg_hi:[0,0,1]
	v_pk_add_f32 v[2:3], v[32:33], v[2:3]
	v_mov_b32_e32 v65, v229
	v_mov_b32_e32 v44, v62
	;; [unrolled: 1-line block ×3, first 2 shown]
	v_pk_add_f32 v[2:3], v[64:65], v[2:3]
	v_mov_b32_e32 v61, v71
	v_pk_add_f32 v[44:45], v[44:45], v[48:49]
	v_pk_mul_f32 v[48:49], v[52:53], s[48:49] op_sel_hi:[1,0]
	v_pk_add_f32 v[2:3], v[60:61], v[2:3]
	v_mov_b32_e32 v41, v67
	v_pk_fma_f32 v[52:53], v[46:47], s[10:11], v[48:49] op_sel:[0,0,1] op_sel_hi:[1,0,0]
	v_pk_fma_f32 v[46:47], v[46:47], s[10:11], v[48:49] op_sel:[0,0,1] op_sel_hi:[1,0,0] neg_lo:[0,0,1] neg_hi:[0,0,1]
	v_pk_add_f32 v[2:3], v[40:41], v[2:3]
	v_mov_b32_e32 v43, v63
	v_mov_b32_e32 v48, v52
	;; [unrolled: 1-line block ×3, first 2 shown]
	v_pk_add_f32 v[2:3], v[42:43], v[2:3]
	v_mov_b32_e32 v47, v53
	v_pk_add_f32 v[44:45], v[48:49], v[44:45]
	v_pk_add_f32 v[2:3], v[46:47], v[2:3]
	ds_write2_b64 v115, v[44:45], v[2:3] offset0:56 offset1:63
	v_pk_add_f32 v[2:3], v[184:185], v[174:175]
	v_pk_add_f32 v[32:33], v[184:185], v[136:137]
	;; [unrolled: 1-line block ×9, first 2 shown]
	v_mov_b32_e32 v203, v215
	v_pk_add_f32 v[32:33], v[158:159], v[32:33]
	v_pk_add_f32 v[2:3], v[202:203], v[2:3]
	v_mov_b32_e32 v211, v223
	v_pk_add_f32 v[32:33], v[162:163], v[32:33]
	v_pk_add_f32 v[2:3], v[210:211], v[2:3]
	v_mov_b32_e32 v219, v231
	v_pk_add_f32 v[6:7], v[166:167], v[32:33]
	v_mov_b32_e32 v143, v251
	v_pk_add_f32 v[2:3], v[218:219], v[2:3]
	v_pk_add_f32 v[6:7], v[142:143], v[6:7]
	ds_write2_b64 v115, v[2:3], v[6:7] offset0:70 offset1:77
	v_pk_add_f32 v[2:3], v[184:185], v[108:109]
	v_pk_add_f32 v[6:7], v[184:185], v[54:55]
	;; [unrolled: 1-line block ×6, first 2 shown]
	v_accvgpr_read_b32 v1, a7
	v_pk_add_f32 v[2:3], v[122:123], v[2:3]
	v_mov_b32_e32 v127, v125
	v_pk_add_f32 v[6:7], v[76:77], v[6:7]
	v_mov_b32_e32 v5, v17
	v_mov_b32_e32 v13, v35
	v_accvgpr_read_b32 v35, a9
	v_pk_add_f32 v[0:1], v[184:185], v[0:1]
	v_pk_add_f32 v[2:3], v[126:127], v[2:3]
	v_mov_b32_e32 v131, v129
	v_pk_add_f32 v[4:5], v[4:5], v[6:7]
	v_mov_b32_e32 v99, v97
	v_mov_b32_e32 v19, v81
	v_pk_add_f32 v[0:1], v[34:35], v[0:1]
	v_accvgpr_read_b32 v81, a11
	v_pk_add_f32 v[2:3], v[130:131], v[2:3]
	v_mov_b32_e32 v135, v133
	v_pk_add_f32 v[4:5], v[98:99], v[4:5]
	v_mov_b32_e32 v103, v101
	v_mov_b32_e32 v27, v87
	v_pk_add_f32 v[0:1], v[80:81], v[0:1]
	v_accvgpr_read_b32 v87, a13
	v_pk_add_f32 v[2:3], v[134:135], v[2:3]
	v_mov_b32_e32 v145, v11
	v_pk_add_f32 v[4:5], v[102:103], v[4:5]
	v_mov_b32_e32 v107, v105
	v_pk_add_f32 v[0:1], v[86:87], v[0:1]
	v_accvgpr_read_b32 v89, a15
	v_pk_add_f32 v[2:3], v[144:145], v[2:3]
	v_pk_add_f32 v[4:5], v[106:107], v[4:5]
	;; [unrolled: 1-line block ×3, first 2 shown]
	v_accvgpr_read_b32 v93, a17
	ds_write2_b64 v115, v[2:3], v[4:5] offset0:84 offset1:91
	v_pk_add_f32 v[4:5], v[184:185], v[8:9]
	v_pk_add_f32 v[0:1], v[92:93], v[0:1]
	v_accvgpr_read_b32 v169, a19
	v_accvgpr_read_b32 v17, a3
	;; [unrolled: 1-line block ×3, first 2 shown]
	v_pk_add_f32 v[4:5], v[12:13], v[4:5]
	v_mov_b32_e32 v23, v83
	v_pk_add_f32 v[0:1], v[168:169], v[0:1]
	v_accvgpr_read_b32 v83, a21
	v_accvgpr_read_b32 v42, a128
	;; [unrolled: 1-line block ×4, first 2 shown]
	v_pk_add_f32 v[4:5], v[18:19], v[4:5]
	v_accvgpr_read_b32 v44, a130
	v_accvgpr_read_b32 v45, a131
	v_pk_mul_f32 v[16:17], v[16:17], v[46:47]
	v_accvgpr_read_b32 v18, a68
	v_pk_add_f32 v[0:1], v[82:83], v[0:1]
	v_accvgpr_read_b32 v19, a69
	ds_write_b64 v115, v[0:1] offset:896
	v_pk_fma_f32 v[68:69], v[44:45], v[46:47], v[16:17] op_sel:[0,0,1] op_sel_hi:[1,1,0]
	v_pk_fma_f32 v[0:1], v[44:45], v[46:47], v[16:17] op_sel:[0,0,1] op_sel_hi:[1,1,0] neg_lo:[0,0,1] neg_hi:[0,0,1]
	v_accvgpr_read_b32 v44, a220
	v_pk_mul_f32 v[18:19], v[18:19], v[246:247]
	v_accvgpr_read_b32 v20, a46
	v_accvgpr_read_b32 v53, a51
	v_accvgpr_read_b32 v45, a221
	v_accvgpr_read_b32 v21, a47
	v_accvgpr_read_b32 v52, a50
	v_mov_b32_e32 v69, v1
	v_pk_fma_f32 v[16:17], v[44:45], v[246:247], v[18:19] op_sel:[0,0,1] op_sel_hi:[1,1,0]
	v_pk_fma_f32 v[0:1], v[44:45], v[246:247], v[18:19] op_sel:[0,0,1] op_sel_hi:[1,1,0] neg_lo:[0,0,1] neg_hi:[0,0,1]
	v_accvgpr_read_b32 v44, a50
	v_pk_add_f32 v[4:5], v[22:23], v[4:5]
	v_pk_mul_f32 v[20:21], v[20:21], v[52:53]
	v_accvgpr_read_b32 v23, a5
	v_accvgpr_read_b32 v46, a222
	;; [unrolled: 1-line block ×5, first 2 shown]
	v_mov_b32_e32 v17, v1
	v_pk_fma_f32 v[18:19], v[46:47], v[44:45], v[20:21] op_sel:[0,0,1] op_sel_hi:[1,1,0]
	v_pk_fma_f32 v[0:1], v[46:47], v[44:45], v[20:21] op_sel:[0,0,1] op_sel_hi:[1,1,0] neg_lo:[0,0,1] neg_hi:[0,0,1]
	v_accvgpr_read_b32 v44, a212
	v_mov_b32_e32 v249, v25
	v_pk_mul_f32 v[22:23], v[22:23], v[238:239]
	v_accvgpr_read_b32 v24, a40
	v_accvgpr_read_b32 v55, a31
	;; [unrolled: 1-line block ×5, first 2 shown]
	v_mov_b32_e32 v19, v1
	v_pk_fma_f32 v[20:21], v[44:45], v[238:239], v[22:23] op_sel:[0,0,1] op_sel_hi:[1,1,0]
	v_pk_fma_f32 v[0:1], v[44:45], v[238:239], v[22:23] op_sel:[0,0,1] op_sel_hi:[1,1,0] neg_lo:[0,0,1] neg_hi:[0,0,1]
	v_accvgpr_read_b32 v45, a31
	v_pk_add_f32 v[4:5], v[26:27], v[4:5]
	v_pk_mul_f32 v[24:25], v[24:25], v[54:55]
	v_accvgpr_read_b32 v26, a36
	v_accvgpr_read_b32 v46, a214
	;; [unrolled: 1-line block ×4, first 2 shown]
	v_mov_b32_e32 v237, v29
	v_accvgpr_read_b32 v27, a37
	v_accvgpr_read_b32 v28, a32
	v_mov_b32_e32 v21, v1
	v_pk_fma_f32 v[22:23], v[46:47], v[44:45], v[24:25] op_sel:[0,0,1] op_sel_hi:[1,1,0]
	v_pk_fma_f32 v[0:1], v[46:47], v[44:45], v[24:25] op_sel:[0,0,1] op_sel_hi:[1,1,0] neg_lo:[0,0,1] neg_hi:[0,0,1]
	v_accvgpr_read_b32 v44, a204
	v_mov_b32_e32 v31, v173
	v_pk_mul_f32 v[26:27], v[26:27], v[244:245]
	v_accvgpr_read_b32 v29, a33
	v_accvgpr_read_b32 v45, a205
	v_pk_add_f32 v[4:5], v[30:31], v[4:5]
	v_pk_mul_f32 v[28:29], v[28:29], v[252:253]
	v_accvgpr_read_b32 v30, a42
	v_accvgpr_read_b32 v60, a82
	v_mov_b32_e32 v23, v1
	v_accvgpr_read_b32 v46, a206
	v_accvgpr_read_b32 v47, a207
	v_pk_fma_f32 v[24:25], v[44:45], v[244:245], v[26:27] op_sel:[0,0,1] op_sel_hi:[1,1,0]
	v_pk_fma_f32 v[0:1], v[44:45], v[244:245], v[26:27] op_sel:[0,0,1] op_sel_hi:[1,1,0] neg_lo:[0,0,1] neg_hi:[0,0,1]
	v_accvgpr_read_b32 v31, a43
	v_accvgpr_read_b32 v61, a83
	;; [unrolled: 1-line block ×3, first 2 shown]
	v_mov_b32_e32 v25, v1
	v_pk_fma_f32 v[26:27], v[46:47], v[252:253], v[28:29] op_sel:[0,0,1] op_sel_hi:[1,1,0]
	v_pk_fma_f32 v[0:1], v[46:47], v[252:253], v[28:29] op_sel:[0,0,1] op_sel_hi:[1,1,0] neg_lo:[0,0,1] neg_hi:[0,0,1]
	v_accvgpr_read_b32 v44, a196
	v_accvgpr_read_b32 v52, a82
	v_pk_mul_f32 v[30:31], v[30:31], v[60:61]
	v_accvgpr_read_b32 v33, a53
	v_accvgpr_read_b32 v45, a197
	;; [unrolled: 1-line block ×3, first 2 shown]
	v_mov_b32_e32 v37, v39
	v_accvgpr_read_b32 v38, a120
	v_accvgpr_read_b32 v56, a172
	v_pk_mul_f32 v[32:33], v[32:33], v[242:243]
	v_mov_b32_e32 v27, v1
	v_accvgpr_read_b32 v46, a198
	v_accvgpr_read_b32 v47, a199
	v_pk_fma_f32 v[28:29], v[44:45], v[52:53], v[30:31] op_sel:[0,0,1] op_sel_hi:[1,1,0]
	v_pk_fma_f32 v[0:1], v[44:45], v[52:53], v[30:31] op_sel:[0,0,1] op_sel_hi:[1,1,0] neg_lo:[0,0,1] neg_hi:[0,0,1]
	v_accvgpr_read_b32 v39, a121
	v_accvgpr_read_b32 v57, a173
	v_mov_b32_e32 v29, v1
	v_pk_fma_f32 v[0:1], v[46:47], v[242:243], v[32:33] op_sel:[0,0,1] op_sel_hi:[1,1,0]
	v_pk_fma_f32 v[30:31], v[46:47], v[242:243], v[32:33] op_sel:[0,0,1] op_sel_hi:[1,1,0] neg_lo:[0,0,1] neg_hi:[0,0,1]
	v_accvgpr_read_b32 v32, a172
	v_pk_mul_f32 v[6:7], v[38:39], v[56:57] op_sel:[1,0]
	v_accvgpr_read_b32 v33, a173
	v_accvgpr_read_b32 v58, a174
	v_mov_b32_e32 v1, v31
	v_pk_fma_f32 v[30:31], v[38:39], v[32:33], v[6:7] op_sel:[0,0,1] op_sel_hi:[1,1,0]
	v_pk_fma_f32 v[6:7], v[38:39], v[32:33], v[6:7] op_sel:[0,0,1] op_sel_hi:[0,1,0] neg_lo:[0,0,1] neg_hi:[0,0,1]
	v_mov_b32_e32 v183, v189
	v_accvgpr_read_b32 v40, a122
	v_accvgpr_read_b32 v41, a123
	;; [unrolled: 1-line block ×3, first 2 shown]
	v_mov_b32_e32 v31, v7
	v_accvgpr_read_b32 v6, a174
	v_mov_b32_e32 v193, v197
	v_pk_add_f32 v[2:3], v[184:185], v[182:183]
	v_pk_mul_f32 v[8:9], v[40:41], v[58:59] op_sel:[1,0]
	v_accvgpr_read_b32 v7, a175
	v_pk_add_f32 v[2:3], v[192:193], v[2:3]
	v_mov_b32_e32 v205, v201
	v_mov_b32_e32 v181, v51
	v_accvgpr_read_b32 v48, a132
	v_accvgpr_read_b32 v62, a80
	v_pk_fma_f32 v[46:47], v[40:41], v[6:7], v[8:9] op_sel:[0,0,1] op_sel_hi:[1,1,0]
	v_pk_fma_f32 v[6:7], v[40:41], v[6:7], v[8:9] op_sel:[0,0,1] op_sel_hi:[0,1,0] neg_lo:[0,0,1] neg_hi:[0,0,1]
	v_pk_add_f32 v[2:3], v[204:205], v[2:3]
	v_mov_b32_e32 v213, v209
	v_accvgpr_read_b32 v49, a133
	v_accvgpr_read_b32 v63, a81
	v_mov_b32_e32 v47, v7
	v_accvgpr_read_b32 v6, a80
	v_pk_add_f32 v[2:3], v[212:213], v[2:3]
	v_mov_b32_e32 v225, v221
	v_accvgpr_read_b32 v50, a134
	v_accvgpr_read_b32 v51, a135
	v_pk_mul_f32 v[10:11], v[48:49], v[62:63] op_sel:[1,0]
	v_accvgpr_read_b32 v7, a81
	v_pk_add_f32 v[2:3], v[224:225], v[2:3]
	v_pk_mul_f32 v[12:13], v[50:51], v[234:235] op_sel:[1,0]
	v_pk_fma_f32 v[8:9], v[48:49], v[6:7], v[10:11] op_sel:[0,0,1] op_sel_hi:[1,1,0]
	v_pk_fma_f32 v[6:7], v[48:49], v[6:7], v[10:11] op_sel:[0,0,1] op_sel_hi:[0,1,0] neg_lo:[0,0,1] neg_hi:[0,0,1]
	v_pk_add_f32 v[2:3], v[236:237], v[2:3]
	v_accvgpr_read_b32 v66, a160
	v_mov_b32_e32 v9, v7
	v_pk_fma_f32 v[10:11], v[50:51], v[234:235], v[12:13] op_sel:[0,0,1] op_sel_hi:[1,1,0]
	v_pk_fma_f32 v[6:7], v[50:51], v[234:235], v[12:13] op_sel:[0,0,1] op_sel_hi:[0,1,0] neg_lo:[0,0,1] neg_hi:[0,0,1]
	v_pk_add_f32 v[2:3], v[248:249], v[2:3]
	v_mov_b32_e32 v177, v85
	v_accvgpr_read_b32 v43, a129
	v_accvgpr_read_b32 v67, a161
	v_mov_b32_e32 v11, v7
	v_accvgpr_read_b32 v6, a160
	v_pk_add_f32 v[2:3], v[36:37], v[2:3]
	v_pk_add_f32 v[4:5], v[176:177], v[4:5]
	v_accvgpr_read_b32 v34, a116
	v_accvgpr_read_b32 v64, a158
	v_pk_mul_f32 v[14:15], v[42:43], v[66:67] op_sel:[1,0]
	v_accvgpr_read_b32 v7, a161
	v_pk_add_f32 v[4:5], v[180:181], v[4:5]
	v_accvgpr_read_b32 v35, a117
	v_accvgpr_read_b32 v65, a159
	v_pk_fma_f32 v[12:13], v[42:43], v[6:7], v[14:15] op_sel:[0,0,1] op_sel_hi:[1,1,0]
	v_pk_fma_f32 v[6:7], v[42:43], v[6:7], v[14:15] op_sel:[0,0,1] op_sel_hi:[0,1,0] neg_lo:[0,0,1] neg_hi:[0,0,1]
	v_accvgpr_read_b32 v14, a158
	ds_write2_b64 v115, v[2:3], v[4:5] offset0:98 offset1:105
	v_accvgpr_read_b32 v36, a118
	v_accvgpr_read_b32 v37, a119
	v_pk_mul_f32 v[2:3], v[34:35], v[64:65] op_sel:[1,0]
	v_accvgpr_read_b32 v15, a159
	v_pk_mul_f32 v[4:5], v[36:37], v[232:233] op_sel:[1,0]
	v_mov_b32_e32 v13, v7
	v_pk_fma_f32 v[6:7], v[34:35], v[14:15], v[2:3] op_sel:[0,0,1] op_sel_hi:[1,1,0]
	v_pk_fma_f32 v[2:3], v[34:35], v[14:15], v[2:3] op_sel:[0,0,1] op_sel_hi:[0,1,0] neg_lo:[0,0,1] neg_hi:[0,0,1]
	v_mov_b32_e32 v7, v3
	v_pk_fma_f32 v[2:3], v[36:37], v[232:233], v[4:5] op_sel:[0,0,1] op_sel_hi:[1,1,0]
	v_pk_fma_f32 v[4:5], v[36:37], v[232:233], v[4:5] op_sel:[0,0,1] op_sel_hi:[0,1,0] neg_lo:[0,0,1] neg_hi:[0,0,1]
	v_mov_b32_e32 v3, v5
	v_pk_add_f32 v[4:5], v[186:187], v[6:7]
	v_pk_add_f32 v[48:49], v[6:7], v[0:1] neg_lo:[0,1] neg_hi:[0,1]
	v_pk_add_f32 v[4:5], v[4:5], v[2:3]
	v_pk_add_f32 v[32:33], v[6:7], v[0:1]
	;; [unrolled: 1-line block ×3, first 2 shown]
	v_pk_mul_f32 v[6:7], v[48:49], s[18:19] op_sel_hi:[1,0]
	v_pk_add_f32 v[4:5], v[4:5], v[46:47]
	v_pk_add_f32 v[64:65], v[2:3], v[28:29] neg_lo:[0,1] neg_hi:[0,1]
	v_pk_add_f32 v[4:5], v[4:5], v[8:9]
	v_pk_fma_f32 v[14:15], v[32:33], s[12:13], v[6:7] op_sel:[0,0,1] op_sel_hi:[1,0,0]
	v_pk_add_f32 v[4:5], v[4:5], v[10:11]
	v_pk_fma_f32 v[34:35], v[32:33], s[12:13], v[6:7] op_sel:[0,0,1] op_sel_hi:[1,0,0] neg_lo:[0,0,1] neg_hi:[0,0,1]
	v_pk_add_f32 v[4:5], v[4:5], v[12:13]
	v_pk_add_f32 v[38:39], v[2:3], v[28:29]
	;; [unrolled: 1-line block ×3, first 2 shown]
	v_pk_mul_f32 v[2:3], v[64:65], s[30:31] op_sel_hi:[1,0]
	v_pk_add_f32 v[4:5], v[4:5], v[16:17]
	v_accvgpr_write_b32 a3, v15
	v_pk_add_f32 v[4:5], v[4:5], v[18:19]
	v_mov_b32_e32 v15, v35
	v_pk_add_f32 v[4:5], v[4:5], v[20:21]
	v_pk_fma_f32 v[40:41], v[38:39], s[0:1], v[2:3] op_sel:[0,0,1] op_sel_hi:[1,0,0] neg_lo:[0,0,1] neg_hi:[0,0,1]
	v_pk_add_f32 v[4:5], v[4:5], v[22:23]
	v_pk_add_f32 v[14:15], v[186:187], v[14:15]
	;; [unrolled: 1-line block ×3, first 2 shown]
	v_pk_add_f32 v[62:63], v[30:31], v[26:27] neg_lo:[0,1] neg_hi:[0,1]
	v_pk_add_f32 v[4:5], v[4:5], v[26:27]
	v_pk_add_f32 v[36:37], v[30:31], v[26:27]
	;; [unrolled: 1-line block ×3, first 2 shown]
	v_pk_add_f32 v[70:71], v[46:47], v[24:25] neg_lo:[0,1] neg_hi:[0,1]
	v_pk_add_f32 v[4:5], v[4:5], v[0:1]
	v_pk_fma_f32 v[0:1], v[38:39], s[0:1], v[2:3] op_sel:[0,0,1] op_sel_hi:[1,0,0]
	v_mov_b32_e32 v3, v41
	v_mov_b32_e32 v2, v0
	v_pk_add_f32 v[2:3], v[2:3], v[14:15]
	v_pk_mul_f32 v[14:15], v[62:63], s[42:43] op_sel_hi:[1,0]
	v_accvgpr_write_b32 a5, v1
	v_pk_fma_f32 v[0:1], v[36:37], s[8:9], v[14:15] op_sel:[0,0,1] op_sel_hi:[1,0,0]
	v_pk_fma_f32 v[44:45], v[36:37], s[8:9], v[14:15] op_sel:[0,0,1] op_sel_hi:[1,0,0] neg_lo:[0,0,1] neg_hi:[0,0,1]
	v_mov_b32_e32 v14, v0
	v_mov_b32_e32 v15, v45
	v_pk_add_f32 v[2:3], v[14:15], v[2:3]
	v_pk_add_f32 v[60:61], v[46:47], v[24:25]
	v_pk_mul_f32 v[14:15], v[70:71], s[28:29] op_sel_hi:[1,0]
	v_pk_add_f32 v[218:219], v[8:9], v[22:23] neg_lo:[0,1] neg_hi:[0,1]
	v_accvgpr_write_b32 a7, v1
	v_pk_fma_f32 v[0:1], v[60:61], s[10:11], v[14:15] op_sel:[0,0,1] op_sel_hi:[1,0,0]
	v_pk_fma_f32 v[50:51], v[60:61], s[10:11], v[14:15] op_sel:[0,0,1] op_sel_hi:[1,0,0] neg_lo:[0,0,1] neg_hi:[0,0,1]
	v_pk_add_f32 v[66:67], v[8:9], v[22:23]
	v_pk_mul_f32 v[8:9], v[218:219], s[16:17] op_sel_hi:[1,0]
	v_mov_b32_e32 v14, v0
	v_accvgpr_write_b32 a9, v1
	v_mov_b32_e32 v15, v51
	v_pk_fma_f32 v[0:1], v[66:67], s[14:15], v[8:9] op_sel:[0,0,1] op_sel_hi:[1,0,0]
	v_pk_fma_f32 v[54:55], v[66:67], s[14:15], v[8:9] op_sel:[0,0,1] op_sel_hi:[1,0,0] neg_lo:[0,0,1] neg_hi:[0,0,1]
	v_pk_add_f32 v[2:3], v[14:15], v[2:3]
	v_mov_b32_e32 v8, v0
	v_mov_b32_e32 v9, v55
	v_pk_add_f32 v[72:73], v[10:11], v[20:21] neg_lo:[0,1] neg_hi:[0,1]
	v_pk_add_f32 v[2:3], v[8:9], v[2:3]
	v_pk_add_f32 v[216:217], v[10:11], v[20:21]
	v_pk_mul_f32 v[8:9], v[72:73], s[22:23] op_sel_hi:[1,0]
	v_pk_add_f32 v[74:75], v[12:13], v[18:19] neg_lo:[0,1] neg_hi:[0,1]
	v_pk_fma_f32 v[56:57], v[216:217], s[20:21], v[8:9] op_sel:[0,0,1] op_sel_hi:[1,0,0]
	v_pk_fma_f32 v[58:59], v[216:217], s[20:21], v[8:9] op_sel:[0,0,1] op_sel_hi:[1,0,0] neg_lo:[0,0,1] neg_hi:[0,0,1]
	v_mov_b32_e32 v8, v56
	v_mov_b32_e32 v9, v59
	v_pk_add_f32 v[2:3], v[8:9], v[2:3]
	v_pk_add_f32 v[220:221], v[12:13], v[18:19]
	v_pk_mul_f32 v[8:9], v[74:75], s[26:27] op_sel_hi:[1,0]
	v_pk_add_f32 v[224:225], v[68:69], v[16:17] neg_lo:[0,1] neg_hi:[0,1]
	v_pk_fma_f32 v[132:133], v[220:221], s[24:25], v[8:9] op_sel:[0,0,1] op_sel_hi:[1,0,0]
	v_pk_fma_f32 v[80:81], v[220:221], s[24:25], v[8:9] op_sel:[0,0,1] op_sel_hi:[1,0,0] neg_lo:[0,0,1] neg_hi:[0,0,1]
	v_mov_b32_e32 v8, v132
	v_mov_b32_e32 v9, v81
	v_pk_add_f32 v[2:3], v[8:9], v[2:3]
	v_pk_add_f32 v[222:223], v[68:69], v[16:17]
	v_pk_mul_f32 v[8:9], v[224:225], s[36:37] op_sel_hi:[1,0]
	v_accvgpr_read_b32 v56, a177
	v_pk_fma_f32 v[82:83], v[222:223], s[34:35], v[8:9] op_sel:[0,0,1] op_sel_hi:[1,0,0]
	v_pk_fma_f32 v[84:85], v[222:223], s[34:35], v[8:9] op_sel:[0,0,1] op_sel_hi:[1,0,0] neg_lo:[0,0,1] neg_hi:[0,0,1]
	v_mov_b32_e32 v8, v82
	v_mov_b32_e32 v9, v85
	v_pk_add_f32 v[2:3], v[8:9], v[2:3]
	ds_write2_b64 v56, v[4:5], v[2:3] offset1:7
	v_pk_mul_f32 v[2:3], v[48:49], s[30:31] op_sel_hi:[1,0]
	v_pk_mul_f32 v[8:9], v[48:49], s[42:43] op_sel_hi:[1,0]
	v_pk_fma_f32 v[86:87], v[32:33], s[0:1], v[2:3] op_sel:[0,0,1] op_sel_hi:[1,0,0]
	v_pk_fma_f32 v[88:89], v[32:33], s[0:1], v[2:3] op_sel:[0,0,1] op_sel_hi:[1,0,0] neg_lo:[0,0,1] neg_hi:[0,0,1]
	v_pk_mul_f32 v[4:5], v[64:65], s[28:29] op_sel_hi:[1,0]
	v_pk_fma_f32 v[52:53], v[32:33], s[8:9], v[8:9] op_sel:[0,0,1] op_sel_hi:[1,0,0]
	v_pk_fma_f32 v[176:177], v[32:33], s[8:9], v[8:9] op_sel:[0,0,1] op_sel_hi:[1,0,0] neg_lo:[0,0,1] neg_hi:[0,0,1]
	v_pk_mul_f32 v[10:11], v[64:65], s[22:23] op_sel_hi:[1,0]
	v_mov_b32_e32 v2, v86
	v_mov_b32_e32 v3, v89
	v_pk_fma_f32 v[94:95], v[38:39], s[10:11], v[4:5] op_sel:[0,0,1] op_sel_hi:[1,0,0]
	v_pk_fma_f32 v[92:93], v[38:39], s[10:11], v[4:5] op_sel:[0,0,1] op_sel_hi:[1,0,0] neg_lo:[0,0,1] neg_hi:[0,0,1]
	v_mov_b32_e32 v8, v52
	v_mov_b32_e32 v9, v177
	v_pk_fma_f32 v[142:143], v[38:39], s[20:21], v[10:11] op_sel:[0,0,1] op_sel_hi:[1,0,0]
	v_pk_fma_f32 v[180:181], v[38:39], s[20:21], v[10:11] op_sel:[0,0,1] op_sel_hi:[1,0,0] neg_lo:[0,0,1] neg_hi:[0,0,1]
	v_pk_add_f32 v[2:3], v[186:187], v[2:3]
	v_mov_b32_e32 v4, v94
	v_mov_b32_e32 v5, v93
	v_pk_add_f32 v[8:9], v[186:187], v[8:9]
	v_mov_b32_e32 v10, v142
	v_mov_b32_e32 v11, v181
	v_pk_add_f32 v[2:3], v[4:5], v[2:3]
	v_pk_mul_f32 v[4:5], v[62:63], s[22:23] op_sel_hi:[1,0]
	v_pk_add_f32 v[8:9], v[10:11], v[8:9]
	v_pk_mul_f32 v[10:11], v[62:63], s[54:55] op_sel_hi:[1,0]
	v_pk_fma_f32 v[68:69], v[36:37], s[20:21], v[4:5] op_sel:[0,0,1] op_sel_hi:[1,0,0]
	v_pk_fma_f32 v[120:121], v[36:37], s[20:21], v[4:5] op_sel:[0,0,1] op_sel_hi:[1,0,0] neg_lo:[0,0,1] neg_hi:[0,0,1]
	v_pk_fma_f32 v[182:183], v[36:37], s[34:35], v[10:11] op_sel:[0,0,1] op_sel_hi:[1,0,0]
	v_pk_fma_f32 v[184:185], v[36:37], s[34:35], v[10:11] op_sel:[0,0,1] op_sel_hi:[1,0,0] neg_lo:[0,0,1] neg_hi:[0,0,1]
	v_mov_b32_e32 v4, v68
	v_mov_b32_e32 v5, v121
	v_mov_b32_e32 v10, v182
	v_mov_b32_e32 v11, v185
	v_pk_add_f32 v[2:3], v[4:5], v[2:3]
	v_pk_mul_f32 v[4:5], v[70:71], s[36:37] op_sel_hi:[1,0]
	v_pk_add_f32 v[8:9], v[10:11], v[8:9]
	v_pk_mul_f32 v[10:11], v[70:71], s[46:47] op_sel_hi:[1,0]
	v_pk_fma_f32 v[122:123], v[60:61], s[34:35], v[4:5] op_sel:[0,0,1] op_sel_hi:[1,0,0]
	v_pk_fma_f32 v[128:129], v[60:61], s[34:35], v[4:5] op_sel:[0,0,1] op_sel_hi:[1,0,0] neg_lo:[0,0,1] neg_hi:[0,0,1]
	v_pk_fma_f32 v[188:189], v[60:61], s[14:15], v[10:11] op_sel:[0,0,1] op_sel_hi:[1,0,0]
	v_pk_fma_f32 v[190:191], v[60:61], s[14:15], v[10:11] op_sel:[0,0,1] op_sel_hi:[1,0,0] neg_lo:[0,0,1] neg_hi:[0,0,1]
	v_mov_b32_e32 v4, v122
	v_mov_b32_e32 v5, v129
	;; [unrolled: 12-line block ×6, first 2 shown]
	v_mov_b32_e32 v10, v204
	v_mov_b32_e32 v11, v207
	v_pk_add_f32 v[4:5], v[4:5], v[2:3]
	v_pk_add_f32 v[8:9], v[10:11], v[8:9]
	ds_write2_b64 v56, v[4:5], v[8:9] offset0:14 offset1:21
	v_pk_mul_f32 v[4:5], v[48:49], s[28:29] op_sel_hi:[1,0]
	v_pk_mul_f32 v[8:9], v[64:65], s[36:37] op_sel_hi:[1,0]
	v_pk_fma_f32 v[212:213], v[32:33], s[10:11], v[4:5] op_sel:[0,0,1] op_sel_hi:[1,0,0]
	v_pk_fma_f32 v[30:31], v[32:33], s[10:11], v[4:5] op_sel:[0,0,1] op_sel_hi:[1,0,0] neg_lo:[0,0,1] neg_hi:[0,0,1]
	v_mov_b32_e32 v4, v212
	v_mov_b32_e32 v5, v31
	v_pk_fma_f32 v[214:215], v[38:39], s[34:35], v[8:9] op_sel:[0,0,1] op_sel_hi:[1,0,0]
	v_pk_fma_f32 v[28:29], v[38:39], s[34:35], v[8:9] op_sel:[0,0,1] op_sel_hi:[1,0,0] neg_lo:[0,0,1] neg_hi:[0,0,1]
	v_pk_add_f32 v[4:5], v[186:187], v[4:5]
	v_mov_b32_e32 v8, v214
	v_mov_b32_e32 v9, v29
	v_pk_add_f32 v[4:5], v[8:9], v[4:5]
	v_pk_mul_f32 v[8:9], v[62:63], s[46:47] op_sel_hi:[1,0]
	v_pk_mul_f32 v[10:11], v[70:71], s[40:41] op_sel_hi:[1,0]
	v_pk_fma_f32 v[20:21], v[36:37], s[14:15], v[8:9] op_sel:[0,0,1] op_sel_hi:[1,0,0]
	v_pk_fma_f32 v[208:209], v[36:37], s[14:15], v[8:9] op_sel:[0,0,1] op_sel_hi:[1,0,0] neg_lo:[0,0,1] neg_hi:[0,0,1]
	v_mov_b32_e32 v8, v20
	v_mov_b32_e32 v9, v209
	v_pk_fma_f32 v[46:47], v[60:61], s[12:13], v[10:11] op_sel:[0,0,1] op_sel_hi:[1,0,0]
	v_pk_fma_f32 v[10:11], v[60:61], s[12:13], v[10:11] op_sel:[0,0,1] op_sel_hi:[1,0,0] neg_lo:[0,0,1] neg_hi:[0,0,1]
	v_pk_mul_f32 v[14:15], v[218:219], s[42:43] op_sel_hi:[1,0]
	v_pk_add_f32 v[4:5], v[8:9], v[4:5]
	v_mov_b32_e32 v12, v46
	v_mov_b32_e32 v13, v11
	v_pk_fma_f32 v[42:43], v[66:67], s[8:9], v[14:15] op_sel:[0,0,1] op_sel_hi:[1,0,0]
	v_pk_fma_f32 v[14:15], v[66:67], s[8:9], v[14:15] op_sel:[0,0,1] op_sel_hi:[1,0,0] neg_lo:[0,0,1] neg_hi:[0,0,1]
	v_pk_add_f32 v[4:5], v[12:13], v[4:5]
	v_mov_b32_e32 v16, v42
	v_mov_b32_e32 v17, v15
	v_pk_mul_f32 v[18:19], v[72:73], s[26:27] op_sel_hi:[1,0]
	v_pk_add_f32 v[4:5], v[16:17], v[4:5]
	v_pk_fma_f32 v[16:17], v[216:217], s[24:25], v[18:19] op_sel:[0,0,1] op_sel_hi:[1,0,0]
	v_pk_fma_f32 v[18:19], v[216:217], s[24:25], v[18:19] op_sel:[0,0,1] op_sel_hi:[1,0,0] neg_lo:[0,0,1] neg_hi:[0,0,1]
	v_mov_b32_e32 v22, v16
	v_mov_b32_e32 v23, v19
	v_pk_mul_f32 v[24:25], v[74:75], s[52:53] op_sel_hi:[1,0]
	v_pk_add_f32 v[4:5], v[22:23], v[4:5]
	v_pk_fma_f32 v[22:23], v[220:221], s[20:21], v[24:25] op_sel:[0,0,1] op_sel_hi:[1,0,0]
	v_pk_fma_f32 v[210:211], v[220:221], s[20:21], v[24:25] op_sel:[0,0,1] op_sel_hi:[1,0,0] neg_lo:[0,0,1] neg_hi:[0,0,1]
	;; [unrolled: 6-line block ×3, first 2 shown]
	v_mov_b32_e32 v76, v24
	v_mov_b32_e32 v77, v27
	v_pk_add_f32 v[134:135], v[76:77], v[4:5]
	v_pk_mul_f32 v[4:5], v[48:49], s[16:17] op_sel_hi:[1,0]
	v_pk_mul_f32 v[76:77], v[64:65], s[50:51] op_sel_hi:[1,0]
	v_pk_fma_f32 v[96:97], v[32:33], s[14:15], v[4:5] op_sel:[0,0,1] op_sel_hi:[1,0,0]
	v_pk_fma_f32 v[78:79], v[32:33], s[14:15], v[4:5] op_sel:[0,0,1] op_sel_hi:[1,0,0] neg_lo:[0,0,1] neg_hi:[0,0,1]
	v_mov_b32_e32 v4, v96
	v_mov_b32_e32 v5, v79
	v_pk_fma_f32 v[100:101], v[38:39], s[24:25], v[76:77] op_sel:[0,0,1] op_sel_hi:[1,0,0]
	v_pk_fma_f32 v[98:99], v[38:39], s[24:25], v[76:77] op_sel:[0,0,1] op_sel_hi:[1,0,0] neg_lo:[0,0,1] neg_hi:[0,0,1]
	v_pk_add_f32 v[4:5], v[186:187], v[4:5]
	v_mov_b32_e32 v76, v100
	v_mov_b32_e32 v77, v99
	v_pk_add_f32 v[4:5], v[76:77], v[4:5]
	v_pk_mul_f32 v[76:77], v[62:63], s[44:45] op_sel_hi:[1,0]
	v_pk_mul_f32 v[148:149], v[64:65], s[46:47] op_sel_hi:[1,0]
	v_pk_fma_f32 v[102:103], v[36:37], s[0:1], v[76:77] op_sel:[0,0,1] op_sel_hi:[1,0,0]
	v_pk_fma_f32 v[104:105], v[36:37], s[0:1], v[76:77] op_sel:[0,0,1] op_sel_hi:[1,0,0] neg_lo:[0,0,1] neg_hi:[0,0,1]
	v_mov_b32_e32 v76, v102
	v_mov_b32_e32 v77, v105
	v_pk_add_f32 v[4:5], v[76:77], v[4:5]
	v_pk_mul_f32 v[76:77], v[70:71], s[42:43] op_sel_hi:[1,0]
	v_pk_fma_f32 v[150:151], v[38:39], s[14:15], v[148:149] op_sel:[0,0,1] op_sel_hi:[1,0,0]
	v_pk_fma_f32 v[106:107], v[60:61], s[8:9], v[76:77] op_sel:[0,0,1] op_sel_hi:[1,0,0]
	v_pk_fma_f32 v[108:109], v[60:61], s[8:9], v[76:77] op_sel:[0,0,1] op_sel_hi:[1,0,0] neg_lo:[0,0,1] neg_hi:[0,0,1]
	v_mov_b32_e32 v76, v106
	v_mov_b32_e32 v77, v109
	v_pk_add_f32 v[4:5], v[76:77], v[4:5]
	v_pk_mul_f32 v[76:77], v[218:219], s[36:37] op_sel_hi:[1,0]
	v_pk_fma_f32 v[148:149], v[38:39], s[14:15], v[148:149] op_sel:[0,0,1] op_sel_hi:[1,0,0] neg_lo:[0,0,1] neg_hi:[0,0,1]
	v_pk_fma_f32 v[110:111], v[66:67], s[34:35], v[76:77] op_sel:[0,0,1] op_sel_hi:[1,0,0]
	v_pk_fma_f32 v[112:113], v[66:67], s[34:35], v[76:77] op_sel:[0,0,1] op_sel_hi:[1,0,0] neg_lo:[0,0,1] neg_hi:[0,0,1]
	v_mov_b32_e32 v76, v110
	v_mov_b32_e32 v77, v113
	v_pk_add_f32 v[4:5], v[76:77], v[4:5]
	v_pk_mul_f32 v[76:77], v[72:73], s[48:49] op_sel_hi:[1,0]
	v_mov_b32_e32 v152, v150
	v_pk_fma_f32 v[12:13], v[216:217], s[10:11], v[76:77] op_sel:[0,0,1] op_sel_hi:[1,0,0]
	v_pk_fma_f32 v[116:117], v[216:217], s[10:11], v[76:77] op_sel:[0,0,1] op_sel_hi:[1,0,0] neg_lo:[0,0,1] neg_hi:[0,0,1]
	v_mov_b32_e32 v76, v12
	v_mov_b32_e32 v77, v117
	v_pk_add_f32 v[4:5], v[76:77], v[4:5]
	v_pk_mul_f32 v[76:77], v[74:75], s[18:19] op_sel_hi:[1,0]
	v_mov_b32_e32 v153, v149
	v_pk_fma_f32 v[118:119], v[220:221], s[12:13], v[76:77] op_sel:[0,0,1] op_sel_hi:[1,0,0]
	v_pk_fma_f32 v[124:125], v[220:221], s[12:13], v[76:77] op_sel:[0,0,1] op_sel_hi:[1,0,0] neg_lo:[0,0,1] neg_hi:[0,0,1]
	v_mov_b32_e32 v76, v118
	v_mov_b32_e32 v77, v125
	v_pk_add_f32 v[140:141], v[76:77], v[4:5]
	v_pk_mul_f32 v[4:5], v[224:225], s[22:23] op_sel_hi:[1,0]
	v_pk_mul_f32 v[234:235], v[64:65], s[38:39] op_sel_hi:[1,0]
	v_pk_fma_f32 v[76:77], v[222:223], s[20:21], v[4:5] op_sel:[0,0,1] op_sel_hi:[1,0,0]
	v_pk_fma_f32 v[4:5], v[222:223], s[20:21], v[4:5] op_sel:[0,0,1] op_sel_hi:[1,0,0] neg_lo:[0,0,1] neg_hi:[0,0,1]
	v_mov_b32_e32 v146, v76
	v_mov_b32_e32 v147, v5
	v_pk_add_f32 v[140:141], v[146:147], v[140:141]
	ds_write2_b64 v56, v[134:135], v[140:141] offset0:28 offset1:35
	v_pk_mul_f32 v[134:135], v[48:49], s[22:23] op_sel_hi:[1,0]
	v_pk_fma_f32 v[236:237], v[38:39], s[8:9], v[234:235] op_sel:[0,0,1] op_sel_hi:[1,0,0]
	v_pk_fma_f32 v[140:141], v[32:33], s[20:21], v[134:135] op_sel:[0,0,1] op_sel_hi:[1,0,0]
	v_pk_fma_f32 v[134:135], v[32:33], s[20:21], v[134:135] op_sel:[0,0,1] op_sel_hi:[1,0,0] neg_lo:[0,0,1] neg_hi:[0,0,1]
	v_mov_b32_e32 v146, v140
	v_mov_b32_e32 v147, v135
	v_pk_add_f32 v[146:147], v[186:187], v[146:147]
	v_pk_fma_f32 v[234:235], v[38:39], s[8:9], v[234:235] op_sel:[0,0,1] op_sel_hi:[1,0,0] neg_lo:[0,0,1] neg_hi:[0,0,1]
	v_pk_add_f32 v[146:147], v[152:153], v[146:147]
	v_pk_mul_f32 v[152:153], v[62:63], s[18:19] op_sel_hi:[1,0]
	v_mov_b32_e32 v238, v236
	v_pk_fma_f32 v[154:155], v[36:37], s[12:13], v[152:153] op_sel:[0,0,1] op_sel_hi:[1,0,0]
	v_pk_fma_f32 v[152:153], v[36:37], s[12:13], v[152:153] op_sel:[0,0,1] op_sel_hi:[1,0,0] neg_lo:[0,0,1] neg_hi:[0,0,1]
	v_mov_b32_e32 v156, v154
	v_mov_b32_e32 v157, v153
	v_pk_add_f32 v[146:147], v[156:157], v[146:147]
	v_pk_mul_f32 v[156:157], v[70:71], s[26:27] op_sel_hi:[1,0]
	v_mov_b32_e32 v239, v235
	v_pk_fma_f32 v[158:159], v[60:61], s[24:25], v[156:157] op_sel:[0,0,1] op_sel_hi:[1,0,0]
	v_pk_fma_f32 v[156:157], v[60:61], s[24:25], v[156:157] op_sel:[0,0,1] op_sel_hi:[1,0,0] neg_lo:[0,0,1] neg_hi:[0,0,1]
	v_mov_b32_e32 v160, v158
	v_mov_b32_e32 v161, v157
	v_pk_add_f32 v[146:147], v[160:161], v[146:147]
	v_pk_mul_f32 v[160:161], v[218:219], s[48:49] op_sel_hi:[1,0]
	v_accvgpr_write_b32 a11, v1
	v_pk_fma_f32 v[162:163], v[66:67], s[10:11], v[160:161] op_sel:[0,0,1] op_sel_hi:[1,0,0]
	v_pk_fma_f32 v[160:161], v[66:67], s[10:11], v[160:161] op_sel:[0,0,1] op_sel_hi:[1,0,0] neg_lo:[0,0,1] neg_hi:[0,0,1]
	v_mov_b32_e32 v164, v162
	v_mov_b32_e32 v165, v161
	v_pk_add_f32 v[146:147], v[164:165], v[146:147]
	v_pk_mul_f32 v[164:165], v[72:73], s[30:31] op_sel_hi:[1,0]
	v_mov_b32_e32 v135, v141
	v_pk_fma_f32 v[166:167], v[216:217], s[0:1], v[164:165] op_sel:[0,0,1] op_sel_hi:[1,0,0]
	v_pk_fma_f32 v[164:165], v[216:217], s[0:1], v[164:165] op_sel:[0,0,1] op_sel_hi:[1,0,0] neg_lo:[0,0,1] neg_hi:[0,0,1]
	v_mov_b32_e32 v170, v166
	v_mov_b32_e32 v171, v165
	v_pk_add_f32 v[146:147], v[170:171], v[146:147]
	v_pk_mul_f32 v[170:171], v[74:75], s[36:37] op_sel_hi:[1,0]
	v_mov_b32_e32 v235, v237
	;; [unrolled: 7-line block ×4, first 2 shown]
	v_pk_fma_f32 v[230:231], v[32:33], s[24:25], v[228:229] op_sel:[0,0,1] op_sel_hi:[1,0,0]
	v_pk_fma_f32 v[228:229], v[32:33], s[24:25], v[228:229] op_sel:[0,0,1] op_sel_hi:[1,0,0] neg_lo:[0,0,1] neg_hi:[0,0,1]
	v_mov_b32_e32 v232, v230
	v_mov_b32_e32 v233, v229
	v_pk_add_f32 v[232:233], v[186:187], v[232:233]
	v_mov_b32_e32 v229, v231
	v_pk_add_f32 v[232:233], v[238:239], v[232:233]
	v_pk_mul_f32 v[238:239], v[62:63], s[28:29] op_sel_hi:[1,0]
	v_pk_mul_f32 v[62:63], v[62:63], s[26:27] op_sel_hi:[1,0]
	v_pk_fma_f32 v[240:241], v[36:37], s[10:11], v[238:239] op_sel:[0,0,1] op_sel_hi:[1,0,0]
	v_pk_fma_f32 v[238:239], v[36:37], s[10:11], v[238:239] op_sel:[0,0,1] op_sel_hi:[1,0,0] neg_lo:[0,0,1] neg_hi:[0,0,1]
	v_mov_b32_e32 v242, v240
	v_mov_b32_e32 v243, v239
	v_pk_add_f32 v[232:233], v[242:243], v[232:233]
	v_pk_mul_f32 v[242:243], v[70:71], s[52:53] op_sel_hi:[1,0]
	v_mov_b32_e32 v239, v241
	v_pk_fma_f32 v[244:245], v[60:61], s[20:21], v[242:243] op_sel:[0,0,1] op_sel_hi:[1,0,0]
	v_pk_fma_f32 v[242:243], v[60:61], s[20:21], v[242:243] op_sel:[0,0,1] op_sel_hi:[1,0,0] neg_lo:[0,0,1] neg_hi:[0,0,1]
	v_mov_b32_e32 v246, v244
	v_mov_b32_e32 v247, v243
	v_pk_add_f32 v[232:233], v[246:247], v[232:233]
	v_pk_mul_f32 v[246:247], v[218:219], s[18:19] op_sel_hi:[1,0]
	v_mov_b32_e32 v243, v245
	;; [unrolled: 7-line block ×3, first 2 shown]
	v_pk_fma_f32 v[252:253], v[216:217], s[34:35], v[250:251] op_sel:[0,0,1] op_sel_hi:[1,0,0]
	v_pk_fma_f32 v[250:251], v[216:217], s[34:35], v[250:251] op_sel:[0,0,1] op_sel_hi:[1,0,0] neg_lo:[0,0,1] neg_hi:[0,0,1]
	v_mov_b32_e32 v254, v252
	v_mov_b32_e32 v255, v251
	v_pk_add_f32 v[232:233], v[254:255], v[232:233]
	v_pk_mul_f32 v[254:255], v[74:75], s[44:45] op_sel_hi:[1,0]
	v_pk_mul_f32 v[74:75], v[74:75], s[16:17] op_sel_hi:[1,0]
	v_pk_fma_f32 v[8:9], v[220:221], s[0:1], v[254:255] op_sel:[0,0,1] op_sel_hi:[1,0,0]
	v_pk_fma_f32 v[254:255], v[220:221], s[0:1], v[254:255] op_sel:[0,0,1] op_sel_hi:[1,0,0] neg_lo:[0,0,1] neg_hi:[0,0,1]
	v_mov_b32_e32 v0, v8
	v_mov_b32_e32 v1, v255
	v_pk_add_f32 v[0:1], v[0:1], v[232:233]
	v_pk_mul_f32 v[232:233], v[224:225], s[16:17] op_sel_hi:[1,0]
	v_mov_b32_e32 v247, v249
	v_pk_fma_f32 v[6:7], v[222:223], s[14:15], v[232:233] op_sel:[0,0,1] op_sel_hi:[1,0,0]
	v_pk_fma_f32 v[232:233], v[222:223], s[14:15], v[232:233] op_sel:[0,0,1] op_sel_hi:[1,0,0] neg_lo:[0,0,1] neg_hi:[0,0,1]
	v_mov_b32_e32 v2, v6
	v_mov_b32_e32 v3, v233
	v_pk_add_f32 v[0:1], v[2:3], v[0:1]
	ds_write2_b64 v56, v[146:147], v[0:1] offset0:42 offset1:49
	v_pk_mul_f32 v[0:1], v[48:49], s[36:37] op_sel_hi:[1,0]
	v_mov_b32_e32 v161, v163
	v_pk_fma_f32 v[2:3], v[32:33], s[34:35], v[0:1] op_sel:[0,0,1] op_sel_hi:[1,0,0]
	v_pk_fma_f32 v[0:1], v[32:33], s[34:35], v[0:1] op_sel:[0,0,1] op_sel_hi:[1,0,0] neg_lo:[0,0,1] neg_hi:[0,0,1]
	v_pk_mul_f32 v[32:33], v[64:65], s[40:41] op_sel_hi:[1,0]
	v_mov_b32_e32 v251, v253
	v_pk_fma_f32 v[48:49], v[38:39], s[12:13], v[32:33] op_sel:[0,0,1] op_sel_hi:[1,0,0]
	v_pk_fma_f32 v[32:33], v[38:39], s[12:13], v[32:33] op_sel:[0,0,1] op_sel_hi:[1,0,0] neg_lo:[0,0,1] neg_hi:[0,0,1]
	v_mov_b32_e32 v38, v2
	v_mov_b32_e32 v39, v1
	v_pk_add_f32 v[38:39], v[186:187], v[38:39]
	v_mov_b32_e32 v64, v48
	v_mov_b32_e32 v65, v33
	v_pk_add_f32 v[38:39], v[64:65], v[38:39]
	v_pk_fma_f32 v[64:65], v[36:37], s[24:25], v[62:63] op_sel:[0,0,1] op_sel_hi:[1,0,0]
	v_pk_fma_f32 v[36:37], v[36:37], s[24:25], v[62:63] op_sel:[0,0,1] op_sel_hi:[1,0,0] neg_lo:[0,0,1] neg_hi:[0,0,1]
	v_mov_b32_e32 v62, v64
	v_mov_b32_e32 v63, v37
	v_pk_add_f32 v[38:39], v[62:63], v[38:39]
	v_pk_mul_f32 v[62:63], v[70:71], s[44:45] op_sel_hi:[1,0]
	v_mov_b32_e32 v1, v3
	v_pk_fma_f32 v[70:71], v[60:61], s[0:1], v[62:63] op_sel:[0,0,1] op_sel_hi:[1,0,0]
	v_pk_fma_f32 v[60:61], v[60:61], s[0:1], v[62:63] op_sel:[0,0,1] op_sel_hi:[1,0,0] neg_lo:[0,0,1] neg_hi:[0,0,1]
	v_mov_b32_e32 v62, v70
	v_mov_b32_e32 v63, v61
	v_pk_add_f32 v[38:39], v[62:63], v[38:39]
	v_pk_mul_f32 v[62:63], v[218:219], s[22:23] op_sel_hi:[1,0]
	v_mov_b32_e32 v33, v49
	v_pk_fma_f32 v[146:147], v[66:67], s[20:21], v[62:63] op_sel:[0,0,1] op_sel_hi:[1,0,0]
	v_pk_fma_f32 v[62:63], v[66:67], s[20:21], v[62:63] op_sel:[0,0,1] op_sel_hi:[1,0,0] neg_lo:[0,0,1] neg_hi:[0,0,1]
	v_mov_b32_e32 v66, v146
	v_mov_b32_e32 v67, v63
	v_pk_add_f32 v[38:39], v[66:67], v[38:39]
	v_pk_mul_f32 v[66:67], v[72:73], s[38:39] op_sel_hi:[1,0]
	v_pk_add_f32 v[0:1], v[186:187], v[0:1]
	v_pk_fma_f32 v[72:73], v[216:217], s[8:9], v[66:67] op_sel:[0,0,1] op_sel_hi:[1,0,0]
	v_pk_fma_f32 v[66:67], v[216:217], s[8:9], v[66:67] op_sel:[0,0,1] op_sel_hi:[1,0,0] neg_lo:[0,0,1] neg_hi:[0,0,1]
	v_mov_b32_e32 v216, v72
	v_mov_b32_e32 v217, v67
	v_pk_add_f32 v[0:1], v[32:33], v[0:1]
	v_mov_b32_e32 v37, v65
	v_pk_add_f32 v[38:39], v[216:217], v[38:39]
	v_pk_fma_f32 v[216:217], v[220:221], s[14:15], v[74:75] op_sel:[0,0,1] op_sel_hi:[1,0,0]
	v_pk_fma_f32 v[74:75], v[220:221], s[14:15], v[74:75] op_sel:[0,0,1] op_sel_hi:[1,0,0] neg_lo:[0,0,1] neg_hi:[0,0,1]
	v_pk_add_f32 v[0:1], v[36:37], v[0:1]
	v_mov_b32_e32 v61, v71
	v_mov_b32_e32 v218, v216
	;; [unrolled: 1-line block ×3, first 2 shown]
	v_pk_add_f32 v[0:1], v[60:61], v[0:1]
	v_mov_b32_e32 v63, v147
	v_pk_add_f32 v[38:39], v[218:219], v[38:39]
	v_pk_mul_f32 v[218:219], v[224:225], s[48:49] op_sel_hi:[1,0]
	v_pk_add_f32 v[0:1], v[62:63], v[0:1]
	v_mov_b32_e32 v67, v73
	v_pk_fma_f32 v[220:221], v[222:223], s[10:11], v[218:219] op_sel:[0,0,1] op_sel_hi:[1,0,0]
	v_pk_fma_f32 v[218:219], v[222:223], s[10:11], v[218:219] op_sel:[0,0,1] op_sel_hi:[1,0,0] neg_lo:[0,0,1] neg_hi:[0,0,1]
	v_pk_add_f32 v[0:1], v[66:67], v[0:1]
	v_mov_b32_e32 v75, v217
	v_mov_b32_e32 v222, v220
	;; [unrolled: 1-line block ×3, first 2 shown]
	v_pk_add_f32 v[0:1], v[74:75], v[0:1]
	v_mov_b32_e32 v219, v221
	v_pk_add_f32 v[38:39], v[222:223], v[38:39]
	v_pk_add_f32 v[0:1], v[218:219], v[0:1]
	ds_write2_b64 v56, v[38:39], v[0:1] offset0:56 offset1:63
	v_pk_add_f32 v[0:1], v[186:187], v[228:229]
	v_pk_add_f32 v[2:3], v[186:187], v[134:135]
	;; [unrolled: 1-line block ×10, first 2 shown]
	v_mov_b32_e32 v165, v167
	v_pk_add_f32 v[0:1], v[250:251], v[0:1]
	v_mov_b32_e32 v255, v9
	v_pk_add_f32 v[2:3], v[164:165], v[2:3]
	;; [unrolled: 2-line block ×5, first 2 shown]
	v_pk_add_f32 v[2:3], v[178:179], v[2:3]
	v_mov_b32_e32 v79, v97
	v_mov_b32_e32 v31, v213
	ds_write2_b64 v56, v[0:1], v[2:3] offset0:70 offset1:77
	v_mov_b32_e32 v99, v101
	v_pk_add_f32 v[0:1], v[186:187], v[78:79]
	v_pk_add_f32 v[2:3], v[186:187], v[30:31]
	v_mov_b32_e32 v29, v215
	v_pk_add_f32 v[0:1], v[98:99], v[0:1]
	v_mov_b32_e32 v105, v103
	;; [unrolled: 2-line block ×13, first 2 shown]
	v_pk_add_f32 v[0:1], v[4:5], v[0:1]
	v_pk_add_f32 v[2:3], v[26:27], v[2:3]
	v_mov_b32_e32 v177, v53
	v_mov_b32_e32 v89, v87
	ds_write2_b64 v56, v[0:1], v[2:3] offset0:84 offset1:91
	v_pk_add_f32 v[0:1], v[186:187], v[176:177]
	v_mov_b32_e32 v181, v143
	v_pk_add_f32 v[2:3], v[186:187], v[88:89]
	v_mov_b32_e32 v93, v95
	;; [unrolled: 2-line block ×14, first 2 shown]
	v_pk_add_f32 v[0:1], v[206:207], v[0:1]
	v_pk_add_f32 v[2:3], v[172:173], v[2:3]
	v_accvgpr_read_b32 v35, a3
	ds_write2_b64 v56, v[0:1], v[2:3] offset0:98 offset1:105
	v_pk_add_f32 v[0:1], v[186:187], v[34:35]
	v_accvgpr_read_b32 v41, a5
	v_pk_add_f32 v[0:1], v[40:41], v[0:1]
	v_accvgpr_read_b32 v45, a7
	;; [unrolled: 2-line block ×4, first 2 shown]
	v_pk_add_f32 v[0:1], v[54:55], v[0:1]
	v_mov_b32_e32 v59, v57
	v_pk_add_f32 v[0:1], v[58:59], v[0:1]
	v_mov_b32_e32 v81, v133
	;; [unrolled: 2-line block ×3, first 2 shown]
	v_accvgpr_read_b32 v60, a242
	v_accvgpr_read_b32 v62, a244
	;; [unrolled: 1-line block ×48, first 2 shown]
	v_add_u32_e32 v126, 0x110, v114
	v_accvgpr_read_b32 v152, a208
	v_accvgpr_read_b32 v154, a210
	v_accvgpr_read_b32 v153, a208
	v_accvgpr_read_b32 v240, a64
	v_accvgpr_read_b32 v241, a64
	v_accvgpr_read_b32 v155, a210
	v_accvgpr_read_b32 v220, a0
	v_accvgpr_read_b32 v221, a0
	v_accvgpr_read_b32 v36, a200
	v_accvgpr_read_b32 v38, a202
	v_accvgpr_read_b32 v37, a200
	v_accvgpr_read_b32 v238, a60
	v_accvgpr_read_b32 v239, a60
	v_accvgpr_read_b32 v39, a202
	v_accvgpr_read_b32 v178, a156
	v_accvgpr_read_b32 v179, a156
	v_add_u32_e32 v146, 0x198, v114
	v_accvgpr_read_b32 v96, a192
	v_accvgpr_read_b32 v98, a194
	v_accvgpr_read_b32 v97, a192
	v_accvgpr_read_b32 v236, a70
	v_accvgpr_read_b32 v237, a70
	v_accvgpr_read_b32 v99, a194
	v_accvgpr_read_b32 v174, a254
	v_accvgpr_read_b32 v175, a254
	v_accvgpr_read_b32 v148, a188
	v_accvgpr_read_b32 v150, a190
	v_accvgpr_read_b32 v149, a188
	v_accvgpr_read_b32 v234, a18
	v_accvgpr_read_b32 v235, a18
	v_accvgpr_read_b32 v151, a190
	v_accvgpr_read_b32 v48, a252
	v_accvgpr_read_b32 v49, a252
	;; [unrolled: 17-line block ×4, first 2 shown]
	v_add_u32_e32 v105, 0x330, v114
	v_pk_add_f32 v[0:1], v[84:85], v[0:1]
	ds_write_b64 v56, v[0:1] offset:896
	s_and_saveexec_b64 s[56:57], vcc
	s_cbranch_execz .LBB0_9
; %bb.8:
	v_accvgpr_write_b32 a133, v63
	v_accvgpr_write_b32 a8, v64
	;; [unrolled: 1-line block ×6, first 2 shown]
	scratch_load_dwordx4 v[62:65], off, off offset:268 ; 16-byte Folded Reload
	v_accvgpr_write_b32 a119, v39
	v_accvgpr_write_b32 a118, v38
	;; [unrolled: 1-line block ×4, first 2 shown]
	v_accvgpr_read_b32 v38, a100
	v_accvgpr_read_b32 v42, a112
	v_accvgpr_write_b32 a16, v32
	v_accvgpr_read_b32 v40, a102
	v_accvgpr_read_b32 v41, a103
	;; [unrolled: 1-line block ×4, first 2 shown]
	v_accvgpr_write_b32 a17, v33
	v_accvgpr_read_b32 v32, a25
	v_accvgpr_read_b32 v39, a101
	;; [unrolled: 1-line block ×3, first 2 shown]
	v_pk_mul_f32 v[0:1], v[40:41], v[44:45] op_sel:[0,1]
	v_accvgpr_read_b32 v52, a104
	v_accvgpr_read_b32 v82, a136
	v_and_b32_e32 v32, 0xff, v32
	v_accvgpr_read_b32 v33, a185
	v_pk_mul_f32 v[4:5], v[38:39], v[42:43] op_sel:[0,1]
	v_accvgpr_read_b32 v54, a106
	v_accvgpr_read_b32 v55, a107
	;; [unrolled: 1-line block ×4, first 2 shown]
	v_accvgpr_write_b32 a55, v9
	v_accvgpr_write_b32 a157, v49
	v_lshl_add_u32 v147, v32, 3, v33
	v_pk_fma_f32 v[32:33], v[40:41], v[44:45], v[0:1] op_sel:[0,0,1] op_sel_hi:[1,1,0]
	v_pk_fma_f32 v[0:1], v[40:41], v[44:45], v[0:1] op_sel:[0,0,1] op_sel_hi:[1,0,0] neg_lo:[1,0,0] neg_hi:[1,0,0]
	v_accvgpr_read_b32 v53, a105
	v_accvgpr_read_b32 v83, a137
	v_accvgpr_write_b32 a54, v8
	v_pk_mul_f32 v[8:9], v[54:55], v[84:85] op_sel:[0,1]
	v_accvgpr_write_b32 a156, v48
	v_accvgpr_read_b32 v48, a96
	v_accvgpr_read_b32 v90, a144
	v_mov_b32_e32 v33, v1
	v_pk_fma_f32 v[40:41], v[38:39], v[42:43], v[4:5] op_sel:[0,0,1] op_sel_hi:[1,1,0]
	v_pk_fma_f32 v[0:1], v[38:39], v[42:43], v[4:5] op_sel:[0,0,1] op_sel_hi:[1,0,0] neg_lo:[1,0,0] neg_hi:[1,0,0]
	v_pk_mul_f32 v[12:13], v[52:53], v[82:83] op_sel:[0,1]
	v_accvgpr_read_b32 v49, a97
	v_accvgpr_read_b32 v50, a98
	;; [unrolled: 1-line block ×5, first 2 shown]
	v_accvgpr_write_b32 a10, v72
	v_accvgpr_write_b32 a22, v70
	;; [unrolled: 1-line block ×4, first 2 shown]
	v_mov_b32_e32 v41, v1
	v_pk_fma_f32 v[42:43], v[54:55], v[84:85], v[8:9] op_sel:[0,0,1] op_sel_hi:[1,1,0]
	v_pk_fma_f32 v[0:1], v[54:55], v[84:85], v[8:9] op_sel:[0,0,1] op_sel_hi:[1,0,0] neg_lo:[1,0,0] neg_hi:[1,0,0]
	v_accvgpr_read_b32 v91, a145
	v_pk_mul_f32 v[16:17], v[50:51], v[92:93] op_sel:[0,1]
	v_accvgpr_write_b32 a11, v73
	v_accvgpr_write_b32 a23, v71
	v_accvgpr_read_b32 v70, a92
	v_accvgpr_write_b32 a81, v101
	v_accvgpr_write_b32 a82, v102
	;; [unrolled: 1-line block ×6, first 2 shown]
	v_accvgpr_read_b32 v98, a152
	v_mov_b32_e32 v43, v1
	v_pk_fma_f32 v[44:45], v[52:53], v[82:83], v[12:13] op_sel:[0,0,1] op_sel_hi:[1,1,0]
	v_pk_fma_f32 v[0:1], v[52:53], v[82:83], v[12:13] op_sel:[0,0,1] op_sel_hi:[1,0,0] neg_lo:[1,0,0] neg_hi:[1,0,0]
	v_pk_mul_f32 v[20:21], v[48:49], v[90:91] op_sel:[0,1]
	v_accvgpr_read_b32 v72, a94
	v_accvgpr_read_b32 v73, a95
	;; [unrolled: 1-line block ×6, first 2 shown]
	v_mov_b32_e32 v45, v1
	v_pk_fma_f32 v[46:47], v[50:51], v[92:93], v[16:17] op_sel:[0,0,1] op_sel_hi:[1,1,0]
	v_pk_fma_f32 v[0:1], v[50:51], v[92:93], v[16:17] op_sel:[0,0,1] op_sel_hi:[1,0,0] neg_lo:[1,0,0] neg_hi:[1,0,0]
	v_accvgpr_write_b32 a6, v66
	v_accvgpr_write_b32 a12, v78
	v_pk_mul_f32 v[24:25], v[72:73], v[100:101] op_sel:[0,1]
	v_accvgpr_read_b32 v36, a78
	v_accvgpr_read_b32 v37, a79
	;; [unrolled: 1-line block ×4, first 2 shown]
	v_mov_b32_e32 v47, v1
	v_pk_fma_f32 v[50:51], v[48:49], v[90:91], v[20:21] op_sel:[0,0,1] op_sel_hi:[1,1,0]
	v_pk_fma_f32 v[0:1], v[48:49], v[90:91], v[20:21] op_sel:[0,0,1] op_sel_hi:[1,0,0] neg_lo:[1,0,0] neg_hi:[1,0,0]
	v_accvgpr_write_b32 a7, v67
	v_accvgpr_read_b32 v66, a88
	v_accvgpr_write_b32 a13, v79
	v_accvgpr_read_b32 v78, a124
	v_accvgpr_read_b32 v71, a93
	;; [unrolled: 1-line block ×3, first 2 shown]
	v_pk_mul_f32 v[30:31], v[36:37], v[96:97] op_sel_hi:[1,0]
	v_mov_b32_e32 v51, v1
	v_pk_fma_f32 v[52:53], v[72:73], v[100:101], v[24:25] op_sel:[0,0,1] op_sel_hi:[1,1,0]
	v_pk_fma_f32 v[0:1], v[72:73], v[100:101], v[24:25] op_sel:[0,0,1] op_sel_hi:[1,0,0] neg_lo:[1,0,0] neg_hi:[1,0,0]
	v_accvgpr_read_b32 v67, a89
	v_accvgpr_read_b32 v79, a125
	v_pk_mul_f32 v[28:29], v[70:71], v[98:99] op_sel:[0,1]
	v_mov_b32_e32 v53, v1
	v_pk_fma_f32 v[54:55], v[36:37], v[96:97], v[30:31] op_sel:[1,1,0] op_sel_hi:[0,1,1]
	v_pk_fma_f32 v[0:1], v[36:37], v[96:97], v[30:31] op_sel:[1,1,0] op_sel_hi:[0,1,1] neg_lo:[0,0,1] neg_hi:[0,0,1]
	v_accvgpr_read_b32 v68, a90
	v_accvgpr_read_b32 v69, a91
	;; [unrolled: 1-line block ×4, first 2 shown]
	v_pk_mul_f32 v[10:11], v[66:67], v[78:79] op_sel_hi:[1,0]
	v_accvgpr_read_b32 v58, a84
	v_accvgpr_read_b32 v86, a140
	v_mov_b32_e32 v55, v1
	v_pk_fma_f32 v[56:57], v[70:71], v[98:99], v[28:29] op_sel:[0,0,1] op_sel_hi:[1,1,0]
	v_pk_fma_f32 v[0:1], v[70:71], v[98:99], v[28:29] op_sel:[0,0,1] op_sel_hi:[1,0,0] neg_lo:[1,0,0] neg_hi:[1,0,0]
	v_pk_mul_f32 v[14:15], v[68:69], v[80:81] op_sel:[0,1]
	v_accvgpr_read_b32 v59, a85
	v_accvgpr_read_b32 v87, a141
	v_mov_b32_e32 v57, v1
	v_pk_fma_f32 v[0:1], v[66:67], v[78:79], v[10:11] op_sel:[1,1,0] op_sel_hi:[0,1,1]
	v_pk_fma_f32 v[4:5], v[66:67], v[78:79], v[10:11] op_sel:[1,1,0] op_sel_hi:[0,1,1] neg_lo:[0,0,1] neg_hi:[0,0,1]
	v_accvgpr_write_b32 a46, v74
	v_accvgpr_read_b32 v60, a86
	v_accvgpr_read_b32 v61, a87
	v_accvgpr_read_b32 v88, a142
	v_accvgpr_read_b32 v89, a143
	v_pk_mul_f32 v[18:19], v[58:59], v[86:87] op_sel:[0,1]
	v_mov_b32_e32 v1, v5
	v_pk_fma_f32 v[4:5], v[68:69], v[80:81], v[14:15] op_sel:[0,0,1] op_sel_hi:[1,1,0]
	v_pk_fma_f32 v[8:9], v[68:69], v[80:81], v[14:15] op_sel:[0,0,1] op_sel_hi:[1,0,0] neg_lo:[1,0,0] neg_hi:[1,0,0]
	v_accvgpr_write_b32 a47, v75
	v_accvgpr_read_b32 v74, a108
	v_pk_mul_f32 v[22:23], v[60:61], v[88:89] op_sel:[0,1]
	v_accvgpr_read_b32 v35, a77
	v_accvgpr_read_b32 v95, a149
	v_mov_b32_e32 v5, v9
	v_pk_fma_f32 v[8:9], v[58:59], v[86:87], v[18:19] op_sel:[0,0,1] op_sel_hi:[1,1,0]
	v_pk_fma_f32 v[10:11], v[58:59], v[86:87], v[18:19] op_sel:[0,0,1] op_sel_hi:[1,0,0] neg_lo:[1,0,0] neg_hi:[1,0,0]
	v_accvgpr_read_b32 v75, a109
	v_pk_mul_f32 v[26:27], v[34:35], v[94:95] op_sel:[0,1]
	v_mov_b32_e32 v9, v11
	v_pk_fma_f32 v[58:59], v[60:61], v[88:89], v[22:23] op_sel:[0,0,1] op_sel_hi:[1,1,0]
	v_pk_fma_f32 v[10:11], v[60:61], v[88:89], v[22:23] op_sel:[0,0,1] op_sel_hi:[1,0,0] neg_lo:[1,0,0] neg_hi:[1,0,0]
	v_accvgpr_read_b32 v76, a110
	v_accvgpr_read_b32 v77, a111
	s_waitcnt vmcnt(0)
	v_pk_mul_f32 v[2:3], v[62:63], v[74:75] op_sel:[0,1]
	v_mov_b32_e32 v59, v11
	v_pk_fma_f32 v[60:61], v[34:35], v[94:95], v[26:27] op_sel:[0,0,1] op_sel_hi:[1,1,0]
	v_pk_fma_f32 v[10:11], v[34:35], v[94:95], v[26:27] op_sel:[0,0,1] op_sel_hi:[1,0,0] neg_lo:[1,0,0] neg_hi:[1,0,0]
	v_pk_mul_f32 v[6:7], v[64:65], v[76:77] op_sel:[0,1]
	v_mov_b32_e32 v61, v11
	v_pk_fma_f32 v[10:11], v[62:63], v[74:75], v[2:3] op_sel:[0,0,1] op_sel_hi:[1,1,0]
	v_pk_fma_f32 v[2:3], v[62:63], v[74:75], v[2:3] op_sel:[0,0,1] op_sel_hi:[1,0,0] neg_lo:[1,0,0] neg_hi:[1,0,0]
	v_accvgpr_read_b32 v120, a74
	v_accvgpr_read_b32 v121, a75
	v_mov_b32_e32 v11, v3
	v_pk_fma_f32 v[2:3], v[64:65], v[76:77], v[6:7] op_sel:[0,0,1] op_sel_hi:[1,1,0]
	v_pk_fma_f32 v[6:7], v[64:65], v[76:77], v[6:7] op_sel:[0,0,1] op_sel_hi:[1,0,0] neg_lo:[1,0,0] neg_hi:[1,0,0]
	v_pk_add_f32 v[64:65], v[10:11], v[32:33] neg_lo:[0,1] neg_hi:[0,1]
	v_mov_b32_e32 v3, v7
	v_pk_add_f32 v[6:7], v[120:121], v[10:11]
	v_pk_add_f32 v[200:201], v[32:33], v[10:11]
	v_pk_add_f32 v[6:7], v[2:3], v[6:7]
	v_pk_add_f32 v[198:199], v[40:41], v[2:3]
	v_pk_add_f32 v[6:7], v[0:1], v[6:7]
	v_pk_add_f32 v[48:49], v[2:3], v[40:41] neg_lo:[0,1] neg_hi:[0,1]
	v_pk_add_f32 v[6:7], v[4:5], v[6:7]
	v_pk_mul_f32 v[2:3], v[64:65], s[18:19] op_sel_hi:[1,0]
	v_pk_add_f32 v[62:63], v[8:9], v[6:7]
	v_pk_add_f32 v[36:37], v[42:43], v[0:1]
	v_pk_add_f32 v[38:39], v[0:1], v[42:43] neg_lo:[0,1] neg_hi:[0,1]
	v_pk_add_f32 v[172:173], v[46:47], v[8:9]
	v_pk_add_f32 v[142:143], v[8:9], v[46:47] neg_lo:[0,1] neg_hi:[0,1]
	v_pk_fma_f32 v[0:1], v[200:201], s[12:13], v[2:3] op_sel:[0,0,1] op_sel_hi:[1,0,0]
	v_pk_fma_f32 v[80:81], v[200:201], s[12:13], v[2:3] op_sel:[0,0,1] op_sel_hi:[1,0,0] neg_lo:[0,0,1] neg_hi:[0,0,1]
	v_pk_mul_f32 v[8:9], v[48:49], s[30:31] op_sel_hi:[1,0]
	v_pk_add_f32 v[186:187], v[4:5], v[44:45] neg_lo:[0,1] neg_hi:[0,1]
	v_mov_b32_e32 v2, v0
	v_mov_b32_e32 v3, v81
	v_pk_fma_f32 v[10:11], v[198:199], s[0:1], v[8:9] op_sel:[0,0,1] op_sel_hi:[1,0,0]
	v_pk_fma_f32 v[8:9], v[198:199], s[0:1], v[8:9] op_sel:[0,0,1] op_sel_hi:[1,0,0] neg_lo:[0,0,1] neg_hi:[0,0,1]
	v_pk_mul_f32 v[12:13], v[38:39], s[42:43] op_sel_hi:[1,0]
	v_pk_add_f32 v[180:181], v[44:45], v[4:5]
	v_pk_add_f32 v[144:145], v[50:51], v[58:59]
	v_pk_add_f32 v[90:91], v[58:59], v[50:51] neg_lo:[0,1] neg_hi:[0,1]
	v_pk_add_f32 v[2:3], v[120:121], v[2:3]
	v_accvgpr_write_b32 a31, v11
	v_mov_b32_e32 v11, v9
	v_pk_fma_f32 v[14:15], v[36:37], s[8:9], v[12:13] op_sel:[0,0,1] op_sel_hi:[1,0,0]
	v_pk_fma_f32 v[12:13], v[36:37], s[8:9], v[12:13] op_sel:[0,0,1] op_sel_hi:[1,0,0] neg_lo:[0,0,1] neg_hi:[0,0,1]
	v_pk_mul_f32 v[16:17], v[186:187], s[28:29] op_sel_hi:[1,0]
	v_pk_add_f32 v[58:59], v[58:59], v[62:63]
	v_pk_add_f32 v[2:3], v[10:11], v[2:3]
	v_accvgpr_write_b32 a35, v15
	v_mov_b32_e32 v15, v13
	v_pk_fma_f32 v[18:19], v[180:181], s[10:11], v[16:17] op_sel:[0,0,1] op_sel_hi:[1,0,0]
	v_pk_fma_f32 v[16:17], v[180:181], s[10:11], v[16:17] op_sel:[0,0,1] op_sel_hi:[1,0,0] neg_lo:[0,0,1] neg_hi:[0,0,1]
	v_pk_mul_f32 v[20:21], v[142:143], s[16:17] op_sel_hi:[1,0]
	v_pk_add_f32 v[58:59], v[60:61], v[58:59]
	v_pk_add_f32 v[92:93], v[56:57], v[54:55]
	v_pk_add_f32 v[68:69], v[54:55], v[56:57] neg_lo:[0,1] neg_hi:[0,1]
	v_pk_add_f32 v[2:3], v[14:15], v[2:3]
	v_accvgpr_write_b32 a51, v19
	v_mov_b32_e32 v19, v17
	v_pk_fma_f32 v[22:23], v[172:173], s[14:15], v[20:21] op_sel:[0,0,1] op_sel_hi:[1,0,0]
	v_pk_fma_f32 v[20:21], v[172:173], s[14:15], v[20:21] op_sel:[0,0,1] op_sel_hi:[1,0,0] neg_lo:[0,0,1] neg_hi:[0,0,1]
	v_pk_add_f32 v[54:55], v[54:55], v[58:59]
	v_pk_add_f32 v[2:3], v[18:19], v[2:3]
	v_accvgpr_write_b32 a59, v23
	v_mov_b32_e32 v23, v21
	v_pk_mul_f32 v[24:25], v[90:91], s[22:23] op_sel_hi:[1,0]
	v_pk_add_f32 v[54:55], v[56:57], v[54:55]
	v_pk_add_f32 v[128:129], v[52:53], v[60:61]
	v_pk_add_f32 v[138:139], v[60:61], v[52:53] neg_lo:[0,1] neg_hi:[0,1]
	v_pk_add_f32 v[2:3], v[22:23], v[2:3]
	v_pk_fma_f32 v[22:23], v[144:145], s[20:21], v[24:25] op_sel:[0,0,1] op_sel_hi:[1,0,0]
	v_pk_fma_f32 v[24:25], v[144:145], s[20:21], v[24:25] op_sel:[0,0,1] op_sel_hi:[1,0,0] neg_lo:[0,0,1] neg_hi:[0,0,1]
	v_pk_add_f32 v[52:53], v[52:53], v[54:55]
	v_mov_b32_e32 v26, v22
	v_mov_b32_e32 v27, v25
	v_pk_mul_f32 v[28:29], v[138:139], s[26:27] op_sel_hi:[1,0]
	v_pk_add_f32 v[50:51], v[50:51], v[52:53]
	v_pk_add_f32 v[2:3], v[26:27], v[2:3]
	v_pk_fma_f32 v[26:27], v[128:129], s[24:25], v[28:29] op_sel:[0,0,1] op_sel_hi:[1,0,0]
	v_pk_fma_f32 v[28:29], v[128:129], s[24:25], v[28:29] op_sel:[0,0,1] op_sel_hi:[1,0,0] neg_lo:[0,0,1] neg_hi:[0,0,1]
	v_pk_add_f32 v[46:47], v[46:47], v[50:51]
	v_mov_b32_e32 v30, v26
	v_mov_b32_e32 v31, v29
	v_pk_mul_f32 v[34:35], v[68:69], s[36:37] op_sel_hi:[1,0]
	v_pk_add_f32 v[44:45], v[44:45], v[46:47]
	v_pk_add_f32 v[2:3], v[30:31], v[2:3]
	v_pk_fma_f32 v[30:31], v[92:93], s[34:35], v[34:35] op_sel:[0,0,1] op_sel_hi:[1,0,0]
	v_pk_fma_f32 v[34:35], v[92:93], s[34:35], v[34:35] op_sel:[0,0,1] op_sel_hi:[1,0,0] neg_lo:[0,0,1] neg_hi:[0,0,1]
	v_pk_add_f32 v[42:43], v[42:43], v[44:45]
	v_mov_b32_e32 v66, v30
	v_mov_b32_e32 v67, v35
	v_pk_add_f32 v[40:41], v[40:41], v[42:43]
	v_pk_add_f32 v[2:3], v[66:67], v[2:3]
	;; [unrolled: 1-line block ×3, first 2 shown]
	v_add_u32_e32 v0, 0x800, v147
	ds_write2_b64 v0, v[32:33], v[2:3] offset0:220 offset1:227
	v_pk_mul_f32 v[2:3], v[64:65], s[30:31] op_sel_hi:[1,0]
	v_pk_mul_f32 v[32:33], v[48:49], s[28:29] op_sel_hi:[1,0]
	v_pk_fma_f32 v[40:41], v[200:201], s[0:1], v[2:3] op_sel:[0,0,1] op_sel_hi:[1,0,0]
	v_pk_fma_f32 v[42:43], v[200:201], s[0:1], v[2:3] op_sel:[0,0,1] op_sel_hi:[1,0,0] neg_lo:[0,0,1] neg_hi:[0,0,1]
	v_mov_b32_e32 v2, v40
	v_mov_b32_e32 v3, v43
	v_pk_fma_f32 v[44:45], v[198:199], s[10:11], v[32:33] op_sel:[0,0,1] op_sel_hi:[1,0,0]
	v_pk_fma_f32 v[46:47], v[198:199], s[10:11], v[32:33] op_sel:[0,0,1] op_sel_hi:[1,0,0] neg_lo:[0,0,1] neg_hi:[0,0,1]
	v_pk_add_f32 v[2:3], v[120:121], v[2:3]
	v_mov_b32_e32 v32, v44
	v_mov_b32_e32 v33, v47
	v_pk_add_f32 v[2:3], v[32:33], v[2:3]
	v_pk_mul_f32 v[32:33], v[38:39], s[22:23] op_sel_hi:[1,0]
	v_accvgpr_write_b32 a92, v148
	v_pk_fma_f32 v[50:51], v[36:37], s[20:21], v[32:33] op_sel:[0,0,1] op_sel_hi:[1,0,0]
	v_pk_fma_f32 v[52:53], v[36:37], s[20:21], v[32:33] op_sel:[0,0,1] op_sel_hi:[1,0,0] neg_lo:[0,0,1] neg_hi:[0,0,1]
	v_mov_b32_e32 v32, v50
	v_mov_b32_e32 v33, v53
	v_pk_add_f32 v[2:3], v[32:33], v[2:3]
	v_pk_mul_f32 v[32:33], v[186:187], s[36:37] op_sel_hi:[1,0]
	v_accvgpr_write_b32 a93, v149
	v_pk_fma_f32 v[54:55], v[180:181], s[34:35], v[32:33] op_sel:[0,0,1] op_sel_hi:[1,0,0]
	v_pk_fma_f32 v[56:57], v[180:181], s[34:35], v[32:33] op_sel:[0,0,1] op_sel_hi:[1,0,0] neg_lo:[0,0,1] neg_hi:[0,0,1]
	v_mov_b32_e32 v32, v54
	v_mov_b32_e32 v33, v57
	v_pk_add_f32 v[2:3], v[32:33], v[2:3]
	v_pk_mul_f32 v[32:33], v[142:143], s[50:51] op_sel_hi:[1,0]
	v_accvgpr_write_b32 a94, v150
	v_pk_fma_f32 v[58:59], v[172:173], s[24:25], v[32:33] op_sel:[0,0,1] op_sel_hi:[1,0,0]
	v_accvgpr_write_b32 a95, v151
	v_pk_fma_f32 v[148:149], v[172:173], s[24:25], v[32:33] op_sel:[0,0,1] op_sel_hi:[1,0,0] neg_lo:[0,0,1] neg_hi:[0,0,1]
	v_mov_b32_e32 v32, v58
	v_mov_b32_e32 v33, v149
	v_pk_add_f32 v[2:3], v[32:33], v[2:3]
	v_pk_mul_f32 v[32:33], v[90:91], s[46:47] op_sel_hi:[1,0]
	v_mov_b32_e32 v13, v122
	v_pk_fma_f32 v[18:19], v[144:145], s[14:15], v[32:33] op_sel:[0,0,1] op_sel_hi:[1,0,0]
	v_pk_fma_f32 v[82:83], v[144:145], s[14:15], v[32:33] op_sel:[0,0,1] op_sel_hi:[1,0,0] neg_lo:[0,0,1] neg_hi:[0,0,1]
	v_mov_b32_e32 v32, v18
	v_mov_b32_e32 v33, v83
	v_pk_add_f32 v[2:3], v[32:33], v[2:3]
	v_pk_mul_f32 v[32:33], v[138:139], s[38:39] op_sel_hi:[1,0]
	v_pk_mul_f32 v[62:63], v[186:187], s[46:47] op_sel_hi:[1,0]
	v_pk_fma_f32 v[84:85], v[128:129], s[8:9], v[32:33] op_sel:[0,0,1] op_sel_hi:[1,0,0]
	v_pk_fma_f32 v[86:87], v[128:129], s[8:9], v[32:33] op_sel:[0,0,1] op_sel_hi:[1,0,0] neg_lo:[0,0,1] neg_hi:[0,0,1]
	v_mov_b32_e32 v32, v84
	v_mov_b32_e32 v33, v87
	v_pk_add_f32 v[2:3], v[32:33], v[2:3]
	v_pk_mul_f32 v[32:33], v[68:69], s[40:41] op_sel_hi:[1,0]
	v_pk_fma_f32 v[10:11], v[180:181], s[14:15], v[62:63] op_sel:[0,0,1] op_sel_hi:[1,0,0]
	v_pk_fma_f32 v[88:89], v[92:93], s[12:13], v[32:33] op_sel:[0,0,1] op_sel_hi:[1,0,0]
	v_pk_fma_f32 v[94:95], v[92:93], s[12:13], v[32:33] op_sel:[0,0,1] op_sel_hi:[1,0,0] neg_lo:[0,0,1] neg_hi:[0,0,1]
	v_mov_b32_e32 v32, v88
	v_mov_b32_e32 v33, v95
	v_pk_add_f32 v[60:61], v[32:33], v[2:3]
	v_pk_mul_f32 v[2:3], v[64:65], s[42:43] op_sel_hi:[1,0]
	v_pk_mul_f32 v[32:33], v[48:49], s[22:23] op_sel_hi:[1,0]
	v_pk_fma_f32 v[14:15], v[200:201], s[8:9], v[2:3] op_sel:[0,0,1] op_sel_hi:[1,0,0]
	v_pk_fma_f32 v[122:123], v[200:201], s[8:9], v[2:3] op_sel:[0,0,1] op_sel_hi:[1,0,0] neg_lo:[0,0,1] neg_hi:[0,0,1]
	v_mov_b32_e32 v2, v14
	v_mov_b32_e32 v3, v123
	v_pk_fma_f32 v[130:131], v[198:199], s[20:21], v[32:33] op_sel:[0,0,1] op_sel_hi:[1,0,0]
	v_pk_fma_f32 v[136:137], v[198:199], s[20:21], v[32:33] op_sel:[0,0,1] op_sel_hi:[1,0,0] neg_lo:[0,0,1] neg_hi:[0,0,1]
	v_pk_add_f32 v[2:3], v[120:121], v[2:3]
	v_mov_b32_e32 v32, v130
	v_mov_b32_e32 v33, v137
	v_pk_add_f32 v[2:3], v[32:33], v[2:3]
	v_pk_mul_f32 v[32:33], v[38:39], s[54:55] op_sel_hi:[1,0]
	v_pk_fma_f32 v[176:177], v[180:181], s[14:15], v[62:63] op_sel:[0,0,1] op_sel_hi:[1,0,0] neg_lo:[0,0,1] neg_hi:[0,0,1]
	v_pk_fma_f32 v[132:133], v[36:37], s[34:35], v[32:33] op_sel:[0,0,1] op_sel_hi:[1,0,0]
	v_pk_fma_f32 v[168:169], v[36:37], s[34:35], v[32:33] op_sel:[0,0,1] op_sel_hi:[1,0,0] neg_lo:[0,0,1] neg_hi:[0,0,1]
	v_mov_b32_e32 v32, v132
	v_mov_b32_e32 v33, v169
	v_pk_add_f32 v[32:33], v[32:33], v[2:3]
	v_mov_b32_e32 v62, v10
	v_mov_b32_e32 v63, v177
	v_pk_add_f32 v[32:33], v[62:63], v[32:33]
	v_pk_mul_f32 v[62:63], v[142:143], s[44:45] op_sel_hi:[1,0]
	v_pk_mul_f32 v[66:67], v[68:69], s[26:27] op_sel_hi:[1,0]
	v_pk_fma_f32 v[182:183], v[172:173], s[0:1], v[62:63] op_sel:[0,0,1] op_sel_hi:[1,0,0]
	v_pk_fma_f32 v[184:185], v[172:173], s[0:1], v[62:63] op_sel:[0,0,1] op_sel_hi:[1,0,0] neg_lo:[0,0,1] neg_hi:[0,0,1]
	v_mov_b32_e32 v62, v182
	v_mov_b32_e32 v63, v185
	v_pk_add_f32 v[32:33], v[62:63], v[32:33]
	v_pk_mul_f32 v[62:63], v[90:91], s[18:19] op_sel_hi:[1,0]
	v_pk_fma_f32 v[196:197], v[92:93], s[24:25], v[66:67] op_sel:[0,0,1] op_sel_hi:[1,0,0] neg_lo:[0,0,1] neg_hi:[0,0,1]
	v_pk_fma_f32 v[188:189], v[144:145], s[12:13], v[62:63] op_sel:[0,0,1] op_sel_hi:[1,0,0]
	v_pk_fma_f32 v[190:191], v[144:145], s[12:13], v[62:63] op_sel:[0,0,1] op_sel_hi:[1,0,0] neg_lo:[0,0,1] neg_hi:[0,0,1]
	v_mov_b32_e32 v62, v188
	v_mov_b32_e32 v63, v191
	v_pk_add_f32 v[32:33], v[62:63], v[32:33]
	v_pk_mul_f32 v[62:63], v[138:139], s[28:29] op_sel_hi:[1,0]
	v_pk_mul_f32 v[70:71], v[48:49], s[36:37] op_sel_hi:[1,0]
	v_pk_fma_f32 v[192:193], v[128:129], s[10:11], v[62:63] op_sel:[0,0,1] op_sel_hi:[1,0,0]
	v_pk_fma_f32 v[194:195], v[128:129], s[10:11], v[62:63] op_sel:[0,0,1] op_sel_hi:[1,0,0] neg_lo:[0,0,1] neg_hi:[0,0,1]
	v_mov_b32_e32 v62, v192
	v_mov_b32_e32 v63, v195
	v_pk_add_f32 v[62:63], v[62:63], v[32:33]
	v_pk_fma_f32 v[32:33], v[92:93], s[24:25], v[66:67] op_sel:[0,0,1] op_sel_hi:[1,0,0]
	v_mov_b32_e32 v67, v197
	v_mov_b32_e32 v66, v32
	v_pk_add_f32 v[62:63], v[66:67], v[62:63]
	ds_write2_b64 v0, v[60:61], v[62:63] offset0:234 offset1:241
	v_pk_mul_f32 v[62:63], v[64:65], s[28:29] op_sel_hi:[1,0]
	v_mov_b32_e32 v9, v105
	v_pk_fma_f32 v[60:61], v[200:201], s[10:11], v[62:63] op_sel:[0,0,1] op_sel_hi:[1,0,0]
	v_pk_fma_f32 v[62:63], v[200:201], s[10:11], v[62:63] op_sel:[0,0,1] op_sel_hi:[1,0,0] neg_lo:[0,0,1] neg_hi:[0,0,1]
	v_mov_b32_e32 v66, v60
	v_mov_b32_e32 v67, v63
	v_pk_add_f32 v[72:73], v[120:121], v[66:67]
	v_pk_fma_f32 v[66:67], v[198:199], s[34:35], v[70:71] op_sel:[0,0,1] op_sel_hi:[1,0,0]
	v_pk_fma_f32 v[70:71], v[198:199], s[34:35], v[70:71] op_sel:[0,0,1] op_sel_hi:[1,0,0] neg_lo:[0,0,1] neg_hi:[0,0,1]
	v_mov_b32_e32 v74, v66
	v_mov_b32_e32 v75, v71
	v_pk_add_f32 v[76:77], v[74:75], v[72:73]
	v_pk_mul_f32 v[74:75], v[38:39], s[46:47] op_sel_hi:[1,0]
	v_accvgpr_write_b32 a76, v106
	v_pk_fma_f32 v[72:73], v[36:37], s[14:15], v[74:75] op_sel:[0,0,1] op_sel_hi:[1,0,0]
	v_pk_fma_f32 v[74:75], v[36:37], s[14:15], v[74:75] op_sel:[0,0,1] op_sel_hi:[1,0,0] neg_lo:[0,0,1] neg_hi:[0,0,1]
	v_mov_b32_e32 v78, v72
	v_mov_b32_e32 v79, v75
	v_pk_add_f32 v[96:97], v[78:79], v[76:77]
	v_pk_mul_f32 v[78:79], v[186:187], s[40:41] op_sel_hi:[1,0]
	v_accvgpr_write_b32 a77, v107
	;; [unrolled: 7-line block ×5, first 2 shown]
	v_pk_fma_f32 v[104:105], v[128:129], s[20:21], v[106:107] op_sel:[0,0,1] op_sel_hi:[1,0,0]
	v_pk_fma_f32 v[106:107], v[128:129], s[20:21], v[106:107] op_sel:[0,0,1] op_sel_hi:[1,0,0] neg_lo:[0,0,1] neg_hi:[0,0,1]
	v_accvgpr_write_b32 a85, v111
	v_accvgpr_write_b32 a86, v112
	v_accvgpr_write_b32 a87, v113
	v_mov_b32_e32 v110, v104
	v_mov_b32_e32 v111, v107
	v_pk_add_f32 v[108:109], v[110:111], v[108:109]
	v_pk_mul_f32 v[110:111], v[68:69], s[44:45] op_sel_hi:[1,0]
	v_accvgpr_write_b32 a136, v140
	v_pk_fma_f32 v[202:203], v[92:93], s[0:1], v[110:111] op_sel:[0,0,1] op_sel_hi:[1,0,0]
	v_pk_fma_f32 v[204:205], v[92:93], s[0:1], v[110:111] op_sel:[0,0,1] op_sel_hi:[1,0,0] neg_lo:[0,0,1] neg_hi:[0,0,1]
	v_mov_b32_e32 v110, v202
	v_mov_b32_e32 v111, v205
	v_accvgpr_write_b32 a137, v141
	v_pk_add_f32 v[140:141], v[110:111], v[108:109]
	v_pk_mul_f32 v[110:111], v[64:65], s[16:17] op_sel_hi:[1,0]
	v_accvgpr_write_b32 a88, v116
	v_pk_fma_f32 v[108:109], v[200:201], s[14:15], v[110:111] op_sel:[0,0,1] op_sel_hi:[1,0,0]
	v_pk_fma_f32 v[110:111], v[200:201], s[14:15], v[110:111] op_sel:[0,0,1] op_sel_hi:[1,0,0] neg_lo:[0,0,1] neg_hi:[0,0,1]
	v_mov_b32_e32 v112, v108
	v_mov_b32_e32 v113, v111
	;; [unrolled: 1-line block ×3, first 2 shown]
	v_pk_mul_f32 v[114:115], v[48:49], s[50:51] op_sel_hi:[1,0]
	v_accvgpr_write_b32 a89, v117
	v_accvgpr_write_b32 a90, v118
	;; [unrolled: 1-line block ×3, first 2 shown]
	v_pk_add_f32 v[116:117], v[120:121], v[112:113]
	v_pk_fma_f32 v[112:113], v[198:199], s[24:25], v[114:115] op_sel:[0,0,1] op_sel_hi:[1,0,0]
	v_pk_fma_f32 v[114:115], v[198:199], s[24:25], v[114:115] op_sel:[0,0,1] op_sel_hi:[1,0,0] neg_lo:[0,0,1] neg_hi:[0,0,1]
	v_mov_b32_e32 v118, v112
	v_mov_b32_e32 v119, v115
	v_accvgpr_write_b32 a129, v125
	v_accvgpr_write_b32 a128, v124
	v_pk_add_f32 v[124:125], v[118:119], v[116:117]
	v_pk_mul_f32 v[118:119], v[38:39], s[44:45] op_sel_hi:[1,0]
	v_mov_b32_e32 v14, v126
	v_pk_fma_f32 v[116:117], v[36:37], s[0:1], v[118:119] op_sel:[0,0,1] op_sel_hi:[1,0,0]
	v_pk_fma_f32 v[118:119], v[36:37], s[0:1], v[118:119] op_sel:[0,0,1] op_sel_hi:[1,0,0] neg_lo:[0,0,1] neg_hi:[0,0,1]
	v_mov_b32_e32 v126, v116
	v_mov_b32_e32 v127, v119
	v_pk_add_f32 v[150:151], v[126:127], v[124:125]
	v_pk_mul_f32 v[126:127], v[186:187], s[42:43] op_sel_hi:[1,0]
	v_accvgpr_write_b32 a100, v152
	v_pk_fma_f32 v[124:125], v[180:181], s[8:9], v[126:127] op_sel:[0,0,1] op_sel_hi:[1,0,0]
	v_pk_fma_f32 v[126:127], v[180:181], s[8:9], v[126:127] op_sel:[0,0,1] op_sel_hi:[1,0,0] neg_lo:[0,0,1] neg_hi:[0,0,1]
	v_accvgpr_write_b32 a101, v153
	v_accvgpr_write_b32 a102, v154
	;; [unrolled: 1-line block ×3, first 2 shown]
	v_mov_b32_e32 v152, v124
	v_mov_b32_e32 v153, v127
	v_pk_add_f32 v[150:151], v[152:153], v[150:151]
	v_pk_mul_f32 v[152:153], v[142:143], s[36:37] op_sel_hi:[1,0]
	v_accvgpr_write_b32 a104, v156
	v_pk_fma_f32 v[206:207], v[172:173], s[34:35], v[152:153] op_sel:[0,0,1] op_sel_hi:[1,0,0]
	v_pk_fma_f32 v[208:209], v[172:173], s[34:35], v[152:153] op_sel:[0,0,1] op_sel_hi:[1,0,0] neg_lo:[0,0,1] neg_hi:[0,0,1]
	v_mov_b32_e32 v152, v206
	v_mov_b32_e32 v153, v209
	v_pk_add_f32 v[150:151], v[152:153], v[150:151]
	v_pk_mul_f32 v[152:153], v[90:91], s[48:49] op_sel_hi:[1,0]
	v_accvgpr_write_b32 a105, v157
	v_pk_fma_f32 v[210:211], v[144:145], s[10:11], v[152:153] op_sel:[0,0,1] op_sel_hi:[1,0,0]
	v_pk_fma_f32 v[212:213], v[144:145], s[10:11], v[152:153] op_sel:[0,0,1] op_sel_hi:[1,0,0] neg_lo:[0,0,1] neg_hi:[0,0,1]
	;; [unrolled: 7-line block ×3, first 2 shown]
	v_accvgpr_write_b32 a107, v159
	v_mov_b32_e32 v156, v154
	v_mov_b32_e32 v157, v153
	v_pk_add_f32 v[150:151], v[156:157], v[150:151]
	v_pk_mul_f32 v[156:157], v[68:69], s[22:23] op_sel_hi:[1,0]
	v_accvgpr_write_b32 a108, v160
	v_pk_fma_f32 v[158:159], v[92:93], s[20:21], v[156:157] op_sel:[0,0,1] op_sel_hi:[1,0,0]
	v_pk_fma_f32 v[156:157], v[92:93], s[20:21], v[156:157] op_sel:[0,0,1] op_sel_hi:[1,0,0] neg_lo:[0,0,1] neg_hi:[0,0,1]
	v_accvgpr_write_b32 a109, v161
	v_accvgpr_write_b32 a110, v162
	;; [unrolled: 1-line block ×3, first 2 shown]
	v_mov_b32_e32 v160, v158
	v_mov_b32_e32 v161, v157
	v_pk_add_f32 v[150:151], v[160:161], v[150:151]
	ds_write2_b64 v0, v[140:141], v[150:151] offset0:248 offset1:255
	v_pk_mul_f32 v[140:141], v[64:65], s[22:23] op_sel_hi:[1,0]
	v_pk_mul_f32 v[162:163], v[48:49], s[46:47] op_sel_hi:[1,0]
	v_pk_fma_f32 v[150:151], v[200:201], s[20:21], v[140:141] op_sel:[0,0,1] op_sel_hi:[1,0,0]
	v_pk_fma_f32 v[140:141], v[200:201], s[20:21], v[140:141] op_sel:[0,0,1] op_sel_hi:[1,0,0] neg_lo:[0,0,1] neg_hi:[0,0,1]
	v_accvgpr_write_b32 a112, v164
	v_mov_b32_e32 v160, v150
	v_mov_b32_e32 v161, v141
	v_accvgpr_write_b32 a113, v165
	v_accvgpr_write_b32 a114, v166
	;; [unrolled: 1-line block ×3, first 2 shown]
	v_pk_fma_f32 v[164:165], v[198:199], s[14:15], v[162:163] op_sel:[0,0,1] op_sel_hi:[1,0,0]
	v_pk_fma_f32 v[162:163], v[198:199], s[14:15], v[162:163] op_sel:[0,0,1] op_sel_hi:[1,0,0] neg_lo:[0,0,1] neg_hi:[0,0,1]
	v_pk_add_f32 v[160:161], v[120:121], v[160:161]
	v_mov_b32_e32 v166, v164
	v_mov_b32_e32 v167, v163
	v_pk_add_f32 v[160:161], v[166:167], v[160:161]
	v_pk_mul_f32 v[166:167], v[38:39], s[18:19] op_sel_hi:[1,0]
	v_accvgpr_write_b32 a138, v170
	v_accvgpr_write_b32 a139, v171
	v_pk_fma_f32 v[170:171], v[36:37], s[12:13], v[166:167] op_sel:[0,0,1] op_sel_hi:[1,0,0]
	v_pk_fma_f32 v[166:167], v[36:37], s[12:13], v[166:167] op_sel:[0,0,1] op_sel_hi:[1,0,0] neg_lo:[0,0,1] neg_hi:[0,0,1]
	v_accvgpr_write_b32 a140, v174
	v_accvgpr_write_b32 a141, v175
	v_mov_b32_e32 v174, v170
	v_mov_b32_e32 v175, v167
	v_pk_add_f32 v[160:161], v[174:175], v[160:161]
	v_pk_mul_f32 v[174:175], v[186:187], s[26:27] op_sel_hi:[1,0]
	v_accvgpr_write_b32 a142, v178
	v_accvgpr_write_b32 a143, v179
	v_pk_fma_f32 v[178:179], v[180:181], s[24:25], v[174:175] op_sel:[0,0,1] op_sel_hi:[1,0,0]
	v_pk_fma_f32 v[174:175], v[180:181], s[24:25], v[174:175] op_sel:[0,0,1] op_sel_hi:[1,0,0] neg_lo:[0,0,1] neg_hi:[0,0,1]
	v_accvgpr_write_b32 a120, v216
	v_accvgpr_write_b32 a121, v217
	;; [unrolled: 1-line block ×4, first 2 shown]
	v_mov_b32_e32 v218, v178
	v_mov_b32_e32 v219, v175
	v_pk_add_f32 v[160:161], v[218:219], v[160:161]
	v_pk_mul_f32 v[218:219], v[142:143], s[48:49] op_sel_hi:[1,0]
	v_accvgpr_write_b32 a144, v220
	v_accvgpr_write_b32 a145, v221
	v_pk_fma_f32 v[220:221], v[172:173], s[10:11], v[218:219] op_sel:[0,0,1] op_sel_hi:[1,0,0]
	v_pk_fma_f32 v[218:219], v[172:173], s[10:11], v[218:219] op_sel:[0,0,1] op_sel_hi:[1,0,0] neg_lo:[0,0,1] neg_hi:[0,0,1]
	v_accvgpr_write_b32 a2, v222
	v_accvgpr_write_b32 a3, v223
	v_mov_b32_e32 v222, v220
	v_mov_b32_e32 v223, v219
	v_pk_add_f32 v[160:161], v[222:223], v[160:161]
	v_pk_mul_f32 v[222:223], v[90:91], s[30:31] op_sel_hi:[1,0]
	v_accvgpr_write_b32 a124, v224
	v_accvgpr_write_b32 a125, v225
	;; [unrolled: 1-line block ×4, first 2 shown]
	v_pk_fma_f32 v[224:225], v[144:145], s[0:1], v[222:223] op_sel:[0,0,1] op_sel_hi:[1,0,0]
	v_pk_fma_f32 v[222:223], v[144:145], s[0:1], v[222:223] op_sel:[0,0,1] op_sel_hi:[1,0,0] neg_lo:[0,0,1] neg_hi:[0,0,1]
	v_mov_b32_e32 v226, v224
	v_mov_b32_e32 v227, v223
	v_pk_add_f32 v[160:161], v[226:227], v[160:161]
	v_pk_mul_f32 v[226:227], v[138:139], s[36:37] op_sel_hi:[1,0]
	v_accvgpr_write_b32 a4, v228
	v_accvgpr_write_b32 a5, v229
	v_pk_fma_f32 v[228:229], v[128:129], s[34:35], v[226:227] op_sel:[0,0,1] op_sel_hi:[1,0,0]
	v_pk_fma_f32 v[226:227], v[128:129], s[34:35], v[226:227] op_sel:[0,0,1] op_sel_hi:[1,0,0] neg_lo:[0,0,1] neg_hi:[0,0,1]
	v_accvgpr_write_b32 a14, v230
	v_accvgpr_write_b32 a15, v231
	v_mov_b32_e32 v230, v228
	v_mov_b32_e32 v231, v227
	v_pk_add_f32 v[160:161], v[230:231], v[160:161]
	v_pk_mul_f32 v[230:231], v[68:69], s[38:39] op_sel_hi:[1,0]
	v_accvgpr_write_b32 a32, v232
	v_accvgpr_write_b32 a33, v233
	v_pk_fma_f32 v[232:233], v[92:93], s[8:9], v[230:231] op_sel:[0,0,1] op_sel_hi:[1,0,0]
	v_pk_fma_f32 v[230:231], v[92:93], s[8:9], v[230:231] op_sel:[0,0,1] op_sel_hi:[1,0,0] neg_lo:[0,0,1] neg_hi:[0,0,1]
	v_accvgpr_write_b32 a18, v234
	v_accvgpr_write_b32 a19, v235
	v_mov_b32_e32 v234, v232
	v_mov_b32_e32 v235, v231
	v_pk_add_f32 v[160:161], v[234:235], v[160:161]
	v_pk_mul_f32 v[234:235], v[64:65], s[26:27] op_sel_hi:[1,0]
	v_accvgpr_write_b32 a36, v236
	v_accvgpr_write_b32 a42, v240
	;; [unrolled: 1-line block ×3, first 2 shown]
	v_pk_fma_f32 v[236:237], v[200:201], s[24:25], v[234:235] op_sel:[0,0,1] op_sel_hi:[1,0,0]
	v_pk_fma_f32 v[234:235], v[200:201], s[24:25], v[234:235] op_sel:[0,0,1] op_sel_hi:[1,0,0] neg_lo:[0,0,1] neg_hi:[0,0,1]
	v_accvgpr_write_b32 a40, v238
	v_accvgpr_write_b32 a43, v241
	v_pk_mul_f32 v[240:241], v[48:49], s[38:39] op_sel_hi:[1,0]
	v_accvgpr_write_b32 a52, v242
	v_accvgpr_write_b32 a41, v239
	v_mov_b32_e32 v238, v236
	v_mov_b32_e32 v239, v235
	v_accvgpr_write_b32 a53, v243
	v_pk_fma_f32 v[242:243], v[198:199], s[8:9], v[240:241] op_sel:[0,0,1] op_sel_hi:[1,0,0]
	v_pk_fma_f32 v[240:241], v[198:199], s[8:9], v[240:241] op_sel:[0,0,1] op_sel_hi:[1,0,0] neg_lo:[0,0,1] neg_hi:[0,0,1]
	v_accvgpr_write_b32 a56, v244
	v_pk_add_f32 v[238:239], v[120:121], v[238:239]
	v_accvgpr_write_b32 a57, v245
	v_mov_b32_e32 v244, v242
	v_mov_b32_e32 v245, v241
	v_pk_add_f32 v[238:239], v[244:245], v[238:239]
	v_pk_mul_f32 v[244:245], v[38:39], s[28:29] op_sel_hi:[1,0]
	v_accvgpr_write_b32 a20, v246
	v_accvgpr_write_b32 a21, v247
	v_pk_fma_f32 v[246:247], v[36:37], s[10:11], v[244:245] op_sel:[0,0,1] op_sel_hi:[1,0,0]
	v_pk_fma_f32 v[244:245], v[36:37], s[10:11], v[244:245] op_sel:[0,0,1] op_sel_hi:[1,0,0] neg_lo:[0,0,1] neg_hi:[0,0,1]
	v_accvgpr_write_b32 a26, v248
	v_accvgpr_write_b32 a27, v249
	v_mov_b32_e32 v248, v246
	v_mov_b32_e32 v249, v245
	v_pk_add_f32 v[238:239], v[248:249], v[238:239]
	v_pk_mul_f32 v[248:249], v[186:187], s[52:53] op_sel_hi:[1,0]
	v_accvgpr_write_b32 a134, v134
	v_pk_fma_f32 v[250:251], v[180:181], s[20:21], v[248:249] op_sel:[0,0,1] op_sel_hi:[1,0,0]
	v_pk_fma_f32 v[248:249], v[180:181], s[20:21], v[248:249] op_sel:[0,0,1] op_sel_hi:[1,0,0] neg_lo:[0,0,1] neg_hi:[0,0,1]
	v_mov_b32_e32 v252, v250
	v_mov_b32_e32 v253, v249
	v_pk_add_f32 v[238:239], v[252:253], v[238:239]
	v_pk_mul_f32 v[252:253], v[142:143], s[18:19] op_sel_hi:[1,0]
	v_accvgpr_write_b32 a135, v135
	v_pk_fma_f32 v[134:135], v[172:173], s[12:13], v[252:253] op_sel:[0,0,1] op_sel_hi:[1,0,0]
	v_pk_fma_f32 v[252:253], v[172:173], s[12:13], v[252:253] op_sel:[0,0,1] op_sel_hi:[1,0,0] neg_lo:[0,0,1] neg_hi:[0,0,1]
	;; [unrolled: 7-line block ×3, first 2 shown]
	v_mov_b32_e32 v214, v216
	v_mov_b32_e32 v215, v255
	v_pk_add_f32 v[214:215], v[214:215], v[238:239]
	v_pk_mul_f32 v[238:239], v[138:139], s[44:45] op_sel_hi:[1,0]
	v_pk_mul_f32 v[48:49], v[48:49], s[40:41] op_sel_hi:[1,0]
	v_pk_fma_f32 v[6:7], v[128:129], s[0:1], v[238:239] op_sel:[0,0,1] op_sel_hi:[1,0,0]
	v_pk_fma_f32 v[238:239], v[128:129], s[0:1], v[238:239] op_sel:[0,0,1] op_sel_hi:[1,0,0] neg_lo:[0,0,1] neg_hi:[0,0,1]
	v_mov_b32_e32 v0, v6
	v_mov_b32_e32 v1, v239
	v_pk_add_f32 v[0:1], v[0:1], v[214:215]
	v_pk_mul_f32 v[214:215], v[68:69], s[16:17] op_sel_hi:[1,0]
	v_pk_mul_f32 v[38:39], v[38:39], s[26:27] op_sel_hi:[1,0]
	v_pk_fma_f32 v[4:5], v[92:93], s[14:15], v[214:215] op_sel:[0,0,1] op_sel_hi:[1,0,0]
	v_pk_fma_f32 v[214:215], v[92:93], s[14:15], v[214:215] op_sel:[0,0,1] op_sel_hi:[1,0,0] neg_lo:[0,0,1] neg_hi:[0,0,1]
	v_mov_b32_e32 v2, v4
	v_mov_b32_e32 v3, v215
	v_pk_add_f32 v[0:1], v[2:3], v[0:1]
	v_add_u32_e32 v4, 0x1000, v147
	ds_write2_b64 v4, v[160:161], v[0:1] offset0:6 offset1:13
	v_pk_mul_f32 v[0:1], v[64:65], s[36:37] op_sel_hi:[1,0]
	v_pk_fma_f32 v[64:65], v[198:199], s[12:13], v[48:49] op_sel:[0,0,1] op_sel_hi:[1,0,0]
	v_pk_fma_f32 v[2:3], v[200:201], s[34:35], v[0:1] op_sel:[0,0,1] op_sel_hi:[1,0,0]
	v_pk_fma_f32 v[0:1], v[200:201], s[34:35], v[0:1] op_sel:[0,0,1] op_sel_hi:[1,0,0] neg_lo:[0,0,1] neg_hi:[0,0,1]
	v_pk_fma_f32 v[48:49], v[198:199], s[12:13], v[48:49] op_sel:[0,0,1] op_sel_hi:[1,0,0] neg_lo:[0,0,1] neg_hi:[0,0,1]
	v_mov_b32_e32 v160, v2
	v_mov_b32_e32 v161, v1
	v_pk_add_f32 v[160:161], v[120:121], v[160:161]
	v_mov_b32_e32 v198, v64
	v_mov_b32_e32 v199, v49
	v_pk_add_f32 v[160:161], v[198:199], v[160:161]
	v_pk_fma_f32 v[198:199], v[36:37], s[24:25], v[38:39] op_sel:[0,0,1] op_sel_hi:[1,0,0]
	v_pk_fma_f32 v[36:37], v[36:37], s[24:25], v[38:39] op_sel:[0,0,1] op_sel_hi:[1,0,0] neg_lo:[0,0,1] neg_hi:[0,0,1]
	v_mov_b32_e32 v38, v198
	v_mov_b32_e32 v39, v37
	v_pk_add_f32 v[38:39], v[38:39], v[160:161]
	v_pk_mul_f32 v[160:161], v[186:187], s[44:45] op_sel_hi:[1,0]
	v_pk_mul_f32 v[142:143], v[142:143], s[22:23] op_sel_hi:[1,0]
	v_pk_fma_f32 v[186:187], v[180:181], s[0:1], v[160:161] op_sel:[0,0,1] op_sel_hi:[1,0,0]
	v_pk_fma_f32 v[160:161], v[180:181], s[0:1], v[160:161] op_sel:[0,0,1] op_sel_hi:[1,0,0] neg_lo:[0,0,1] neg_hi:[0,0,1]
	v_mov_b32_e32 v180, v186
	v_mov_b32_e32 v181, v161
	v_pk_add_f32 v[38:39], v[180:181], v[38:39]
	v_pk_fma_f32 v[180:181], v[172:173], s[20:21], v[142:143] op_sel:[0,0,1] op_sel_hi:[1,0,0]
	v_pk_fma_f32 v[142:143], v[172:173], s[20:21], v[142:143] op_sel:[0,0,1] op_sel_hi:[1,0,0] neg_lo:[0,0,1] neg_hi:[0,0,1]
	v_mov_b32_e32 v1, v3
	v_mov_b32_e32 v172, v180
	;; [unrolled: 1-line block ×3, first 2 shown]
	v_pk_mul_f32 v[90:91], v[90:91], s[38:39] op_sel_hi:[1,0]
	v_mov_b32_e32 v49, v65
	v_pk_add_f32 v[0:1], v[120:121], v[0:1]
	v_pk_add_f32 v[38:39], v[172:173], v[38:39]
	v_pk_fma_f32 v[172:173], v[144:145], s[8:9], v[90:91] op_sel:[0,0,1] op_sel_hi:[1,0,0]
	v_pk_fma_f32 v[90:91], v[144:145], s[8:9], v[90:91] op_sel:[0,0,1] op_sel_hi:[1,0,0] neg_lo:[0,0,1] neg_hi:[0,0,1]
	v_pk_add_f32 v[0:1], v[48:49], v[0:1]
	v_mov_b32_e32 v37, v199
	v_mov_b32_e32 v144, v172
	;; [unrolled: 1-line block ×3, first 2 shown]
	v_pk_mul_f32 v[138:139], v[138:139], s[16:17] op_sel_hi:[1,0]
	v_pk_add_f32 v[0:1], v[36:37], v[0:1]
	v_mov_b32_e32 v161, v187
	v_pk_add_f32 v[38:39], v[144:145], v[38:39]
	v_pk_fma_f32 v[144:145], v[128:129], s[14:15], v[138:139] op_sel:[0,0,1] op_sel_hi:[1,0,0]
	v_pk_fma_f32 v[128:129], v[128:129], s[14:15], v[138:139] op_sel:[0,0,1] op_sel_hi:[1,0,0] neg_lo:[0,0,1] neg_hi:[0,0,1]
	v_pk_add_f32 v[0:1], v[160:161], v[0:1]
	v_mov_b32_e32 v143, v181
	v_mov_b32_e32 v138, v144
	;; [unrolled: 1-line block ×3, first 2 shown]
	v_pk_mul_f32 v[68:69], v[68:69], s[48:49] op_sel_hi:[1,0]
	v_pk_add_f32 v[0:1], v[142:143], v[0:1]
	v_mov_b32_e32 v91, v173
	v_pk_add_f32 v[38:39], v[138:139], v[38:39]
	v_pk_fma_f32 v[138:139], v[92:93], s[10:11], v[68:69] op_sel:[0,0,1] op_sel_hi:[1,0,0]
	v_pk_fma_f32 v[68:69], v[92:93], s[10:11], v[68:69] op_sel:[0,0,1] op_sel_hi:[1,0,0] neg_lo:[0,0,1] neg_hi:[0,0,1]
	v_pk_add_f32 v[0:1], v[90:91], v[0:1]
	v_mov_b32_e32 v129, v145
	v_mov_b32_e32 v92, v138
	;; [unrolled: 1-line block ×3, first 2 shown]
	v_pk_add_f32 v[0:1], v[128:129], v[0:1]
	v_mov_b32_e32 v69, v139
	v_pk_add_f32 v[38:39], v[92:93], v[38:39]
	v_pk_add_f32 v[0:1], v[68:69], v[0:1]
	v_mov_b32_e32 v235, v237
	v_mov_b32_e32 v141, v151
	ds_write2_b64 v4, v[38:39], v[0:1] offset0:20 offset1:27
	v_pk_add_f32 v[0:1], v[120:121], v[234:235]
	v_mov_b32_e32 v241, v243
	v_pk_add_f32 v[2:3], v[120:121], v[140:141]
	v_mov_b32_e32 v163, v165
	v_pk_add_f32 v[0:1], v[240:241], v[0:1]
	v_mov_b32_e32 v245, v247
	v_pk_add_f32 v[2:3], v[162:163], v[2:3]
	v_mov_b32_e32 v167, v171
	v_pk_add_f32 v[0:1], v[244:245], v[0:1]
	v_mov_b32_e32 v249, v251
	v_pk_add_f32 v[2:3], v[166:167], v[2:3]
	v_mov_b32_e32 v175, v179
	v_pk_add_f32 v[0:1], v[248:249], v[0:1]
	v_mov_b32_e32 v253, v135
	v_pk_add_f32 v[2:3], v[174:175], v[2:3]
	v_mov_b32_e32 v219, v221
	v_pk_add_f32 v[0:1], v[252:253], v[0:1]
	v_mov_b32_e32 v255, v217
	v_pk_add_f32 v[2:3], v[218:219], v[2:3]
	v_mov_b32_e32 v223, v225
	v_pk_add_f32 v[0:1], v[254:255], v[0:1]
	v_mov_b32_e32 v239, v7
	v_pk_add_f32 v[2:3], v[222:223], v[2:3]
	v_mov_b32_e32 v227, v229
	v_pk_add_f32 v[0:1], v[238:239], v[0:1]
	v_mov_b32_e32 v215, v5
	v_pk_add_f32 v[2:3], v[226:227], v[2:3]
	v_mov_b32_e32 v231, v233
	v_pk_add_f32 v[0:1], v[214:215], v[0:1]
	v_pk_add_f32 v[2:3], v[230:231], v[2:3]
	v_mov_b32_e32 v111, v109
	v_mov_b32_e32 v63, v61
	ds_write2_b64 v4, v[0:1], v[2:3] offset0:34 offset1:41
	v_pk_add_f32 v[0:1], v[120:121], v[110:111]
	v_mov_b32_e32 v115, v113
	v_pk_add_f32 v[2:3], v[120:121], v[62:63]
	v_mov_b32_e32 v71, v67
	v_pk_add_f32 v[0:1], v[114:115], v[0:1]
	v_mov_b32_e32 v119, v117
	v_pk_add_f32 v[2:3], v[70:71], v[2:3]
	v_mov_b32_e32 v75, v73
	v_pk_add_f32 v[0:1], v[118:119], v[0:1]
	v_mov_b32_e32 v127, v125
	v_pk_add_f32 v[2:3], v[74:75], v[2:3]
	v_mov_b32_e32 v79, v77
	v_pk_add_f32 v[0:1], v[126:127], v[0:1]
	v_mov_b32_e32 v209, v207
	v_pk_add_f32 v[2:3], v[78:79], v[2:3]
	v_mov_b32_e32 v99, v97
	v_pk_add_f32 v[0:1], v[208:209], v[0:1]
	v_mov_b32_e32 v213, v211
	v_pk_add_f32 v[2:3], v[98:99], v[2:3]
	v_mov_b32_e32 v103, v101
	v_pk_add_f32 v[0:1], v[212:213], v[0:1]
	v_mov_b32_e32 v153, v155
	v_pk_add_f32 v[2:3], v[102:103], v[2:3]
	v_mov_b32_e32 v107, v105
	v_pk_add_f32 v[0:1], v[152:153], v[0:1]
	v_mov_b32_e32 v157, v159
	;; [unrolled: 33-line block ×3, first 2 shown]
	v_pk_add_f32 v[2:3], v[86:87], v[2:3]
	v_mov_b32_e32 v95, v89
	v_pk_add_f32 v[0:1], v[196:197], v[0:1]
	v_pk_add_f32 v[2:3], v[94:95], v[2:3]
	v_accvgpr_read_b32 v81, a25
	v_mov_b32_e32 v105, v9
	ds_write2_b64 v4, v[0:1], v[2:3] offset0:62 offset1:69
	v_pk_add_f32 v[0:1], v[120:121], v[80:81]
	v_accvgpr_read_b32 v9, a31
	v_mov_b32_e32 v122, v13
	v_pk_add_f32 v[0:1], v[8:9], v[0:1]
	v_accvgpr_read_b32 v13, a35
	v_pk_add_f32 v[0:1], v[12:13], v[0:1]
	v_accvgpr_read_b32 v17, a51
	;; [unrolled: 2-line block ×3, first 2 shown]
	v_pk_add_f32 v[0:1], v[20:21], v[0:1]
	v_mov_b32_e32 v25, v23
	v_pk_add_f32 v[0:1], v[24:25], v[0:1]
	v_mov_b32_e32 v29, v27
	v_accvgpr_read_b32 v65, a9
	v_accvgpr_read_b32 v48, a156
	;; [unrolled: 1-line block ×42, first 2 shown]
	v_pk_add_f32 v[0:1], v[28:29], v[0:1]
	v_mov_b32_e32 v35, v31
	v_accvgpr_read_b32 v64, a8
	v_accvgpr_read_b32 v49, a157
	v_accvgpr_read_b32 v37, a117
	v_accvgpr_read_b32 v38, a118
	v_accvgpr_read_b32 v39, a119
	v_accvgpr_read_b32 v236, a36
	v_accvgpr_read_b32 v234, a18
	v_accvgpr_read_b32 v242, a52
	v_accvgpr_read_b32 v240, a42
	v_accvgpr_read_b32 v246, a20
	v_accvgpr_read_b32 v244, a56
	v_accvgpr_read_b32 v248, a26
	v_accvgpr_read_b32 v135, a135
	v_accvgpr_read_b32 v238, a40
	v_accvgpr_read_b32 v140, a136
	v_accvgpr_read_b32 v162, a110
	v_accvgpr_read_b32 v161, a109
	v_accvgpr_read_b32 v160, a108
	v_accvgpr_read_b32 v170, a138
	v_accvgpr_read_b32 v166, a114
	v_accvgpr_read_b32 v165, a113
	v_accvgpr_read_b32 v164, a112
	v_accvgpr_read_b32 v178, a142
	v_accvgpr_read_b32 v174, a140
	v_accvgpr_read_b32 v220, a144
	v_accvgpr_read_b32 v218, a122
	v_accvgpr_read_b32 v217, a121
	v_accvgpr_read_b32 v216, a120
	v_accvgpr_read_b32 v222, a2
	v_accvgpr_read_b32 v228, a4
	v_accvgpr_read_b32 v226, a126
	v_accvgpr_read_b32 v225, a125
	v_accvgpr_read_b32 v224, a124
	v_accvgpr_read_b32 v232, a32
	v_accvgpr_read_b32 v230, a14
	v_accvgpr_read_b32 v112, a86
	v_accvgpr_read_b32 v111, a85
	v_accvgpr_read_b32 v110, a84
	v_mov_b32_e32 v115, v10
	v_accvgpr_read_b32 v118, a90
	v_accvgpr_read_b32 v117, a89
	;; [unrolled: 1-line block ×4, first 2 shown]
	v_mov_b32_e32 v126, v14
	v_accvgpr_read_b32 v154, a102
	v_accvgpr_read_b32 v153, a101
	v_accvgpr_read_b32 v152, a100
	v_accvgpr_read_b32 v158, a106
	v_accvgpr_read_b32 v157, a105
	v_accvgpr_read_b32 v156, a104
	v_accvgpr_read_b32 v61, a131
	v_accvgpr_read_b32 v62, a132
	v_accvgpr_read_b32 v63, a133
	v_accvgpr_read_b32 v66, a6
	v_accvgpr_read_b32 v70, a22
	v_accvgpr_read_b32 v72, a10
	v_accvgpr_read_b32 v74, a46
	v_accvgpr_read_b32 v78, a12
	v_accvgpr_read_b32 v97, a97
	v_accvgpr_read_b32 v98, a98
	v_accvgpr_read_b32 v99, a99
	v_accvgpr_read_b32 v102, a82
	v_accvgpr_read_b32 v101, a81
	v_accvgpr_read_b32 v100, a80
	v_accvgpr_read_b32 v108, a78
	v_accvgpr_read_b32 v107, a77
	v_accvgpr_read_b32 v106, a76
	v_accvgpr_read_b32 v32, a16
	v_accvgpr_read_b32 v150, a94
	v_accvgpr_read_b32 v149, a93
	v_accvgpr_read_b32 v148, a92
	v_accvgpr_read_b32 v9, a55
	v_pk_add_f32 v[0:1], v[34:35], v[0:1]
	ds_write_b64 v147, v[0:1] offset:4704
.LBB0_9:
	s_or_b64 exec, exec, s[56:57]
	v_accvgpr_read_b32 v43, a181
	s_waitcnt lgkmcnt(0)
	; wave barrier
	s_waitcnt lgkmcnt(0)
	ds_read2_b64 v[10:13], v43 offset1:17
	ds_read2_b64 v[0:3], v43 offset0:102 offset1:119
	ds_read2_b64 v[4:7], v43 offset0:238 offset1:255
	v_add_u32_e32 v40, 0x800, v43
	ds_read2_b64 v[22:25], v40 offset0:84 offset1:101
	ds_read2_b64 v[18:21], v40 offset0:220 offset1:237
	v_add_u32_e32 v42, 0xc00, v43
	s_waitcnt lgkmcnt(3)
	v_pk_mul_f32 v[8:9], v[8:9], v[2:3]
	v_add_u32_e32 v41, 0x1000, v43
	v_pk_fma_f32 v[56:57], v[60:61], v[2:3], v[8:9] op_sel:[0,0,1] op_sel_hi:[1,1,0]
	v_pk_fma_f32 v[2:3], v[60:61], v[2:3], v[8:9] op_sel:[0,0,1] op_sel_hi:[1,1,0] neg_lo:[0,0,1] neg_hi:[0,0,1]
	v_mov_b32_e32 v14, s2
	v_mov_b32_e32 v57, v3
	s_waitcnt lgkmcnt(2)
	v_pk_mul_f32 v[2:3], v[66:67], v[4:5]
	v_pk_add_f32 v[8:9], v[10:11], v[56:57]
	v_pk_fma_f32 v[58:59], v[62:63], v[4:5], v[2:3] op_sel:[0,0,1] op_sel_hi:[1,1,0]
	v_pk_fma_f32 v[2:3], v[62:63], v[4:5], v[2:3] op_sel:[0,0,1] op_sel_hi:[1,1,0] neg_lo:[0,0,1] neg_hi:[0,0,1]
	v_accvgpr_read_b32 v104, a34
	v_mov_b32_e32 v59, v3
	s_waitcnt lgkmcnt(1)
	v_pk_mul_f32 v[2:3], v[248:249], v[24:25]
	v_pk_add_f32 v[8:9], v[8:9], v[58:59]
	v_pk_fma_f32 v[60:61], v[224:225], v[24:25], v[2:3] op_sel:[0,0,1] op_sel_hi:[1,1,0]
	v_pk_fma_f32 v[2:3], v[224:225], v[24:25], v[2:3] op_sel:[0,0,1] op_sel_hi:[1,1,0] neg_lo:[0,0,1] neg_hi:[0,0,1]
	ds_read2_b64 v[24:27], v40 offset0:118 offset1:135
	v_mov_b32_e32 v61, v3
	s_waitcnt lgkmcnt(1)
	v_pk_mul_f32 v[2:3], v[64:65], v[18:19]
	v_pk_add_f32 v[8:9], v[8:9], v[60:61]
	v_pk_fma_f32 v[62:63], v[226:227], v[18:19], v[2:3] op_sel:[0,0,1] op_sel_hi:[1,1,0]
	v_pk_fma_f32 v[2:3], v[226:227], v[18:19], v[2:3] op_sel:[0,0,1] op_sel_hi:[1,1,0] neg_lo:[0,0,1] neg_hi:[0,0,1]
	s_mov_b32 s2, 0x3f737871
	v_mov_b32_e32 v63, v3
	ds_read2_b64 v[2:5], v43 offset0:136 offset1:153
	v_pk_add_f32 v[64:65], v[8:9], v[62:63]
	v_mad_u64_u32 v[16:17], s[0:1], s6, v104, 0
	s_mov_b32 s6, 0x3f167918
	s_waitcnt lgkmcnt(0)
	v_pk_mul_f32 v[8:9], v[244:245], v[2:3]
	s_mov_b32 s0, 0x3e9e377a
	v_pk_fma_f32 v[66:67], v[216:217], v[2:3], v[8:9] op_sel:[0,0,1] op_sel_hi:[1,1,0]
	v_pk_fma_f32 v[2:3], v[216:217], v[2:3], v[8:9] op_sel:[0,0,1] op_sel_hi:[1,1,0] neg_lo:[0,0,1] neg_hi:[0,0,1]
	v_mov_b32_e32 v15, s3
	v_mov_b32_e32 v67, v3
	v_pk_mul_f32 v[2:3], v[70:71], v[6:7]
	s_nop 0
	v_pk_fma_f32 v[68:69], v[218:219], v[6:7], v[2:3] op_sel:[0,0,1] op_sel_hi:[1,1,0]
	v_pk_fma_f32 v[2:3], v[218:219], v[6:7], v[2:3] op_sel:[0,0,1] op_sel_hi:[1,1,0] neg_lo:[0,0,1] neg_hi:[0,0,1]
	s_nop 0
	v_mov_b32_e32 v69, v3
	v_pk_mul_f32 v[2:3], v[74:75], v[24:25]
	s_nop 0
	v_pk_fma_f32 v[70:71], v[164:165], v[24:25], v[2:3] op_sel:[0,0,1] op_sel_hi:[1,1,0]
	v_pk_fma_f32 v[2:3], v[164:165], v[24:25], v[2:3] op_sel:[0,0,1] op_sel_hi:[1,1,0] neg_lo:[0,0,1] neg_hi:[0,0,1]
	s_nop 0
	v_mov_b32_e32 v71, v3
	v_pk_mul_f32 v[2:3], v[72:73], v[20:21]
	s_nop 0
	v_pk_fma_f32 v[72:73], v[166:167], v[20:21], v[2:3] op_sel:[0,0,1] op_sel_hi:[1,1,0]
	v_pk_fma_f32 v[2:3], v[166:167], v[20:21], v[2:3] op_sel:[0,0,1] op_sel_hi:[1,1,0] neg_lo:[0,0,1] neg_hi:[0,0,1]
	ds_read2_b64 v[6:9], v43 offset0:34 offset1:51
	ds_read2_b64 v[18:21], v40 offset0:16 offset1:33
	v_mov_b32_e32 v73, v3
	v_pk_add_f32 v[2:3], v[12:13], v[66:67]
	ds_read2_b64 v[28:31], v42 offset0:126 offset1:143
	v_pk_add_f32 v[2:3], v[2:3], v[68:69]
	s_nop 0
	v_pk_add_f32 v[2:3], v[2:3], v[70:71]
	s_nop 0
	v_pk_add_f32 v[74:75], v[2:3], v[72:73]
	v_pk_mul_f32 v[2:3], v[246:247], v[4:5]
	s_nop 0
	v_pk_fma_f32 v[76:77], v[160:161], v[4:5], v[2:3] op_sel:[0,0,1] op_sel_hi:[1,1,0]
	v_pk_fma_f32 v[2:3], v[160:161], v[4:5], v[2:3] op_sel:[0,0,1] op_sel_hi:[1,1,0] neg_lo:[0,0,1] neg_hi:[0,0,1]
	s_nop 0
	v_mov_b32_e32 v77, v3
	s_waitcnt lgkmcnt(1)
	v_pk_mul_f32 v[2:3], v[78:79], v[18:19]
	s_nop 0
	v_pk_fma_f32 v[78:79], v[162:163], v[18:19], v[2:3] op_sel:[0,0,1] op_sel_hi:[1,1,0]
	v_pk_fma_f32 v[2:3], v[162:163], v[18:19], v[2:3] op_sel:[0,0,1] op_sel_hi:[1,1,0] neg_lo:[0,0,1] neg_hi:[0,0,1]
	s_nop 0
	v_mov_b32_e32 v79, v3
	v_pk_mul_f32 v[2:3], v[242:243], v[26:27]
	s_nop 0
	v_pk_fma_f32 v[80:81], v[156:157], v[26:27], v[2:3] op_sel:[0,0,1] op_sel_hi:[1,1,0]
	v_pk_fma_f32 v[2:3], v[156:157], v[26:27], v[2:3] op_sel:[0,0,1] op_sel_hi:[1,1,0] neg_lo:[0,0,1] neg_hi:[0,0,1]
	ds_read2_b64 v[24:27], v43 offset0:170 offset1:187
	v_mov_b32_e32 v81, v3
	s_waitcnt lgkmcnt(1)
	v_pk_mul_f32 v[2:3], v[32:33], v[28:29]
	ds_read2_b64 v[32:35], v40 offset0:152 offset1:169
	v_pk_fma_f32 v[82:83], v[158:159], v[28:29], v[2:3] op_sel:[0,0,1] op_sel_hi:[1,1,0]
	v_pk_fma_f32 v[2:3], v[158:159], v[28:29], v[2:3] op_sel:[0,0,1] op_sel_hi:[1,1,0] neg_lo:[0,0,1] neg_hi:[0,0,1]
	s_nop 0
	v_mov_b32_e32 v83, v3
	v_pk_add_f32 v[2:3], v[6:7], v[76:77]
	s_nop 0
	v_pk_add_f32 v[2:3], v[2:3], v[78:79]
	s_nop 0
	;; [unrolled: 2-line block ×3, first 2 shown]
	v_pk_add_f32 v[84:85], v[2:3], v[82:83]
	s_waitcnt lgkmcnt(1)
	v_pk_mul_f32 v[2:3], v[240:241], v[24:25]
	s_nop 0
	v_pk_fma_f32 v[86:87], v[152:153], v[24:25], v[2:3] op_sel:[0,0,1] op_sel_hi:[1,1,0]
	v_pk_fma_f32 v[2:3], v[152:153], v[24:25], v[2:3] op_sel:[0,0,1] op_sel_hi:[1,1,0] neg_lo:[0,0,1] neg_hi:[0,0,1]
	v_pk_mul_f32 v[24:25], v[236:237], v[26:27]
	v_mov_b32_e32 v87, v3
	v_pk_mul_f32 v[2:3], v[220:221], v[20:21]
	s_nop 0
	v_pk_fma_f32 v[88:89], v[154:155], v[20:21], v[2:3] op_sel:[0,0,1] op_sel_hi:[1,1,0]
	v_pk_fma_f32 v[2:3], v[154:155], v[20:21], v[2:3] op_sel:[0,0,1] op_sel_hi:[1,1,0] neg_lo:[0,0,1] neg_hi:[0,0,1]
	s_nop 0
	v_mov_b32_e32 v89, v3
	s_waitcnt lgkmcnt(0)
	v_pk_mul_f32 v[2:3], v[238:239], v[32:33]
	s_nop 0
	v_pk_fma_f32 v[90:91], v[36:37], v[32:33], v[2:3] op_sel:[0,0,1] op_sel_hi:[1,1,0]
	v_pk_fma_f32 v[2:3], v[36:37], v[32:33], v[2:3] op_sel:[0,0,1] op_sel_hi:[1,1,0] neg_lo:[0,0,1] neg_hi:[0,0,1]
	v_pk_fma_f32 v[32:33], v[96:97], v[26:27], v[24:25] op_sel:[0,0,1] op_sel_hi:[1,1,0]
	v_mov_b32_e32 v91, v3
	v_pk_mul_f32 v[2:3], v[178:179], v[30:31]
	v_pk_fma_f32 v[24:25], v[96:97], v[26:27], v[24:25] op_sel:[0,0,1] op_sel_hi:[1,1,0] neg_lo:[0,0,1] neg_hi:[0,0,1]
	v_pk_fma_f32 v[92:93], v[38:39], v[30:31], v[2:3] op_sel:[0,0,1] op_sel_hi:[1,1,0]
	v_pk_fma_f32 v[2:3], v[38:39], v[30:31], v[2:3] op_sel:[0,0,1] op_sel_hi:[1,1,0] neg_lo:[0,0,1] neg_hi:[0,0,1]
	v_mov_b32_e32 v33, v25
	v_mov_b32_e32 v93, v3
	v_pk_add_f32 v[2:3], v[8:9], v[86:87]
	s_nop 0
	v_pk_add_f32 v[2:3], v[2:3], v[88:89]
	s_nop 0
	;; [unrolled: 2-line block ×3, first 2 shown]
	v_pk_add_f32 v[94:95], v[2:3], v[92:93]
	ds_read2_b64 v[2:5], v43 offset0:68 offset1:85
	ds_read2_b64 v[18:21], v40 offset0:50 offset1:67
	;; [unrolled: 1-line block ×4, first 2 shown]
	ds_write_b64 v43, v[64:65]
	s_waitcnt lgkmcnt(3)
	v_pk_mul_f32 v[24:25], v[174:175], v[18:19]
	s_nop 0
	v_pk_fma_f32 v[38:39], v[98:99], v[18:19], v[24:25] op_sel:[0,0,1] op_sel_hi:[1,1,0]
	v_pk_fma_f32 v[18:19], v[98:99], v[18:19], v[24:25] op_sel:[0,0,1] op_sel_hi:[1,1,0] neg_lo:[0,0,1] neg_hi:[0,0,1]
	v_pk_mul_f32 v[24:25], v[134:135], v[22:23]
	v_mov_b32_e32 v39, v19
	v_pk_mul_f32 v[18:19], v[234:235], v[34:35]
	s_nop 0
	v_pk_fma_f32 v[96:97], v[148:149], v[34:35], v[18:19] op_sel:[0,0,1] op_sel_hi:[1,1,0]
	v_pk_fma_f32 v[18:19], v[148:149], v[34:35], v[18:19] op_sel:[0,0,1] op_sel_hi:[1,1,0] neg_lo:[0,0,1] neg_hi:[0,0,1]
	s_nop 0
	v_mov_b32_e32 v97, v19
	s_waitcnt lgkmcnt(2)
	v_pk_mul_f32 v[18:19], v[48:49], v[44:45]
	ds_read2_b64 v[48:51], v43 offset0:204 offset1:221
	v_pk_fma_f32 v[98:99], v[150:151], v[44:45], v[18:19] op_sel:[0,0,1] op_sel_hi:[1,1,0]
	v_pk_fma_f32 v[18:19], v[150:151], v[44:45], v[18:19] op_sel:[0,0,1] op_sel_hi:[1,1,0] neg_lo:[0,0,1] neg_hi:[0,0,1]
	s_nop 0
	v_mov_b32_e32 v99, v19
	v_pk_add_f32 v[18:19], v[2:3], v[32:33]
	s_nop 0
	v_pk_add_f32 v[18:19], v[18:19], v[38:39]
	s_nop 0
	;; [unrolled: 2-line block ×3, first 2 shown]
	v_pk_add_f32 v[36:37], v[18:19], v[98:99]
	s_waitcnt lgkmcnt(0)
	v_pk_mul_f32 v[18:19], v[232:233], v[48:49]
	s_nop 0
	v_pk_fma_f32 v[26:27], v[116:117], v[48:49], v[18:19] op_sel:[0,0,1] op_sel_hi:[1,1,0]
	v_pk_fma_f32 v[18:19], v[116:117], v[48:49], v[18:19] op_sel:[0,0,1] op_sel_hi:[1,1,0] neg_lo:[0,0,1] neg_hi:[0,0,1]
	s_nop 0
	v_mov_b32_e32 v27, v19
	v_pk_mul_f32 v[18:19], v[170:171], v[20:21]
	s_nop 0
	v_pk_fma_f32 v[28:29], v[118:119], v[20:21], v[18:19] op_sel:[0,0,1] op_sel_hi:[1,1,0]
	v_pk_fma_f32 v[18:19], v[118:119], v[20:21], v[18:19] op_sel:[0,0,1] op_sel_hi:[1,1,0] neg_lo:[0,0,1] neg_hi:[0,0,1]
	v_pk_mul_f32 v[20:21], v[228:229], v[50:51]
	v_mov_b32_e32 v29, v19
	v_pk_mul_f32 v[18:19], v[230:231], v[52:53]
	s_nop 0
	v_pk_fma_f32 v[30:31], v[106:107], v[52:53], v[18:19] op_sel:[0,0,1] op_sel_hi:[1,1,0]
	v_pk_fma_f32 v[18:19], v[106:107], v[52:53], v[18:19] op_sel:[0,0,1] op_sel_hi:[1,1,0] neg_lo:[0,0,1] neg_hi:[0,0,1]
	s_nop 0
	v_mov_b32_e32 v31, v19
	v_pk_mul_f32 v[18:19], v[140:141], v[46:47]
	s_nop 0
	v_pk_fma_f32 v[34:35], v[108:109], v[46:47], v[18:19] op_sel:[0,0,1] op_sel_hi:[1,1,0]
	v_pk_fma_f32 v[18:19], v[108:109], v[46:47], v[18:19] op_sel:[0,0,1] op_sel_hi:[1,1,0] neg_lo:[0,0,1] neg_hi:[0,0,1]
	ds_read_b64 v[46:47], v43 offset:4624
	v_mov_b32_e32 v35, v19
	v_pk_add_f32 v[18:19], v[4:5], v[26:27]
	s_waitcnt lgkmcnt(0)
	v_pk_mul_f32 v[48:49], v[124:125], v[46:47]
	v_pk_add_f32 v[18:19], v[18:19], v[28:29]
	s_nop 0
	v_pk_add_f32 v[18:19], v[18:19], v[30:31]
	s_nop 0
	v_pk_add_f32 v[44:45], v[18:19], v[34:35]
	v_pk_fma_f32 v[18:19], v[110:111], v[50:51], v[20:21] op_sel:[0,0,1] op_sel_hi:[1,1,0]
	v_pk_fma_f32 v[20:21], v[110:111], v[50:51], v[20:21] op_sel:[0,0,1] op_sel_hi:[1,1,0] neg_lo:[0,0,1] neg_hi:[0,0,1]
	v_pk_add_f32 v[50:51], v[56:57], v[62:63] neg_lo:[0,1] neg_hi:[0,1]
	v_mov_b32_e32 v19, v21
	v_pk_fma_f32 v[20:21], v[112:113], v[22:23], v[24:25] op_sel:[0,0,1] op_sel_hi:[1,1,0]
	v_pk_fma_f32 v[22:23], v[112:113], v[22:23], v[24:25] op_sel:[0,0,1] op_sel_hi:[1,1,0] neg_lo:[0,0,1] neg_hi:[0,0,1]
	v_pk_mul_f32 v[24:25], v[222:223], v[54:55]
	v_mov_b32_e32 v21, v23
	v_pk_fma_f32 v[22:23], v[100:101], v[54:55], v[24:25] op_sel:[0,0,1] op_sel_hi:[1,1,0]
	v_pk_fma_f32 v[24:25], v[100:101], v[54:55], v[24:25] op_sel:[0,0,1] op_sel_hi:[1,1,0] neg_lo:[0,0,1] neg_hi:[0,0,1]
	v_pk_mul_f32 v[52:53], v[50:51], s[2:3] op_sel_hi:[1,0]
	v_mov_b32_e32 v23, v25
	v_pk_fma_f32 v[24:25], v[102:103], v[46:47], v[48:49] op_sel:[0,0,1] op_sel_hi:[1,1,0]
	v_pk_fma_f32 v[46:47], v[102:103], v[46:47], v[48:49] op_sel:[0,0,1] op_sel_hi:[1,1,0] neg_lo:[0,0,1] neg_hi:[0,0,1]
	v_pk_add_f32 v[48:49], v[58:59], v[60:61]
	v_pk_add_f32 v[54:55], v[58:59], v[60:61] neg_lo:[0,1] neg_hi:[0,1]
	v_pk_fma_f32 v[48:49], v[48:49], 0.5, v[10:11] op_sel_hi:[1,0,1] neg_lo:[1,0,0] neg_hi:[1,0,0]
	v_pk_add_f32 v[100:101], v[56:57], v[58:59] neg_lo:[0,1] neg_hi:[0,1]
	v_pk_add_f32 v[102:103], v[62:63], v[60:61] neg_lo:[0,1] neg_hi:[0,1]
	v_pk_mul_f32 v[64:65], v[54:55], s[6:7] op_sel_hi:[1,0]
	v_pk_add_f32 v[100:101], v[100:101], v[102:103]
	v_pk_add_f32 v[102:103], v[48:49], v[52:53] op_sel:[0,1] op_sel_hi:[1,0] neg_lo:[0,1] neg_hi:[0,1]
	v_pk_add_f32 v[48:49], v[48:49], v[52:53] op_sel:[0,1] op_sel_hi:[1,0]
	v_pk_add_f32 v[52:53], v[102:103], v[64:65] op_sel:[0,1] op_sel_hi:[1,0] neg_lo:[0,1] neg_hi:[0,1]
	v_pk_add_f32 v[48:49], v[48:49], v[64:65] op_sel:[0,1] op_sel_hi:[1,0]
	v_mov_b32_e32 v64, v52
	v_mov_b32_e32 v65, v49
	v_pk_fma_f32 v[64:65], v[100:101], s[0:1], v[64:65] op_sel_hi:[1,0,1]
	v_accvgpr_read_b32 v102, a183
	ds_write_b64 v102, v[64:65] offset:952
	v_pk_add_f32 v[64:65], v[56:57], v[62:63]
	v_pk_add_f32 v[56:57], v[58:59], v[56:57] neg_lo:[0,1] neg_hi:[0,1]
	v_pk_fma_f32 v[10:11], v[64:65], 0.5, v[10:11] op_sel_hi:[1,0,1] neg_lo:[1,0,0] neg_hi:[1,0,0]
	v_pk_add_f32 v[58:59], v[60:61], v[62:63] neg_lo:[0,1] neg_hi:[0,1]
	v_pk_mul_f32 v[54:55], v[54:55], s[2:3] op_sel_hi:[1,0]
	v_pk_add_f32 v[56:57], v[56:57], v[58:59]
	v_pk_mul_f32 v[50:51], v[50:51], s[6:7] op_sel_hi:[1,0]
	v_pk_add_f32 v[58:59], v[10:11], v[54:55] op_sel:[0,1] op_sel_hi:[1,0]
	v_pk_add_f32 v[10:11], v[10:11], v[54:55] op_sel:[0,1] op_sel_hi:[1,0] neg_lo:[0,1] neg_hi:[0,1]
	v_mov_b32_e32 v49, v53
	v_pk_add_f32 v[10:11], v[10:11], v[50:51] op_sel:[0,1] op_sel_hi:[1,0]
	v_pk_add_f32 v[50:51], v[58:59], v[50:51] op_sel:[0,1] op_sel_hi:[1,0] neg_lo:[0,1] neg_hi:[0,1]
	v_mov_b32_e32 v55, v11
	v_mov_b32_e32 v11, v51
	;; [unrolled: 1-line block ×3, first 2 shown]
	v_pk_fma_f32 v[10:11], v[56:57], s[0:1], v[10:11] op_sel_hi:[1,0,1]
	v_pk_fma_f32 v[54:55], v[56:57], s[0:1], v[54:55] op_sel_hi:[1,0,1]
	ds_write_b64 v102, v[10:11] offset:2856
	v_pk_fma_f32 v[10:11], v[100:101], s[0:1], v[48:49] op_sel_hi:[1,0,1]
	ds_write_b64 v102, v[54:55] offset:1904
	ds_write_b64 v102, v[10:11] offset:3808
	;; [unrolled: 1-line block ×3, first 2 shown]
	v_pk_add_f32 v[10:11], v[68:69], v[70:71]
	v_pk_add_f32 v[48:49], v[66:67], v[72:73] neg_lo:[0,1] neg_hi:[0,1]
	v_pk_fma_f32 v[10:11], v[10:11], 0.5, v[12:13] op_sel_hi:[1,0,1] neg_lo:[1,0,0] neg_hi:[1,0,0]
	v_pk_mul_f32 v[50:51], v[48:49], s[2:3] op_sel_hi:[1,0]
	v_pk_add_f32 v[52:53], v[68:69], v[70:71] neg_lo:[0,1] neg_hi:[0,1]
	v_pk_add_f32 v[56:57], v[66:67], v[68:69] neg_lo:[0,1] neg_hi:[0,1]
	;; [unrolled: 1-line block ×3, first 2 shown]
	v_pk_mul_f32 v[54:55], v[52:53], s[6:7] op_sel_hi:[1,0]
	v_pk_add_f32 v[56:57], v[56:57], v[58:59]
	v_pk_add_f32 v[58:59], v[10:11], v[50:51] op_sel:[0,1] op_sel_hi:[1,0] neg_lo:[0,1] neg_hi:[0,1]
	v_pk_add_f32 v[10:11], v[10:11], v[50:51] op_sel:[0,1] op_sel_hi:[1,0]
	v_pk_add_f32 v[50:51], v[58:59], v[54:55] op_sel:[0,1] op_sel_hi:[1,0] neg_lo:[0,1] neg_hi:[0,1]
	v_pk_add_f32 v[10:11], v[10:11], v[54:55] op_sel:[0,1] op_sel_hi:[1,0]
	v_mov_b32_e32 v54, v50
	v_mov_b32_e32 v55, v11
	v_pk_fma_f32 v[54:55], v[56:57], s[0:1], v[54:55] op_sel_hi:[1,0,1]
	ds_write_b64 v102, v[54:55] offset:1088
	v_pk_add_f32 v[54:55], v[66:67], v[72:73]
	v_pk_add_f32 v[58:59], v[70:71], v[72:73] neg_lo:[0,1] neg_hi:[0,1]
	v_pk_fma_f32 v[12:13], v[54:55], 0.5, v[12:13] op_sel_hi:[1,0,1] neg_lo:[1,0,0] neg_hi:[1,0,0]
	v_pk_add_f32 v[54:55], v[68:69], v[66:67] neg_lo:[0,1] neg_hi:[0,1]
	v_pk_mul_f32 v[52:53], v[52:53], s[2:3] op_sel_hi:[1,0]
	v_pk_add_f32 v[54:55], v[54:55], v[58:59]
	v_pk_mul_f32 v[48:49], v[48:49], s[6:7] op_sel_hi:[1,0]
	v_pk_add_f32 v[58:59], v[12:13], v[52:53] op_sel:[0,1] op_sel_hi:[1,0]
	v_pk_add_f32 v[12:13], v[12:13], v[52:53] op_sel:[0,1] op_sel_hi:[1,0] neg_lo:[0,1] neg_hi:[0,1]
	v_mov_b32_e32 v11, v51
	v_pk_add_f32 v[12:13], v[12:13], v[48:49] op_sel:[0,1] op_sel_hi:[1,0]
	v_pk_add_f32 v[48:49], v[58:59], v[48:49] op_sel:[0,1] op_sel_hi:[1,0] neg_lo:[0,1] neg_hi:[0,1]
	v_mov_b32_e32 v53, v13
	v_mov_b32_e32 v13, v49
	v_pk_fma_f32 v[12:13], v[54:55], s[0:1], v[12:13] op_sel_hi:[1,0,1]
	v_pk_fma_f32 v[10:11], v[56:57], s[0:1], v[10:11] op_sel_hi:[1,0,1]
	v_mov_b32_e32 v52, v48
	ds_write_b64 v102, v[12:13] offset:2992
	ds_write_b64 v102, v[10:11] offset:3944
	v_pk_add_f32 v[10:11], v[78:79], v[80:81]
	v_pk_add_f32 v[12:13], v[76:77], v[82:83] neg_lo:[0,1] neg_hi:[0,1]
	v_pk_fma_f32 v[52:53], v[54:55], s[0:1], v[52:53] op_sel_hi:[1,0,1]
	v_pk_fma_f32 v[10:11], v[10:11], 0.5, v[6:7] op_sel_hi:[1,0,1] neg_lo:[1,0,0] neg_hi:[1,0,0]
	v_pk_mul_f32 v[48:49], v[12:13], s[2:3] op_sel_hi:[1,0]
	v_pk_add_f32 v[50:51], v[78:79], v[80:81] neg_lo:[0,1] neg_hi:[0,1]
	v_pk_add_f32 v[54:55], v[76:77], v[78:79] neg_lo:[0,1] neg_hi:[0,1]
	;; [unrolled: 1-line block ×3, first 2 shown]
	ds_write_b64 v102, v[52:53] offset:2040
	v_pk_mul_f32 v[52:53], v[50:51], s[6:7] op_sel_hi:[1,0]
	v_pk_add_f32 v[54:55], v[54:55], v[56:57]
	v_pk_add_f32 v[56:57], v[10:11], v[48:49] op_sel:[0,1] op_sel_hi:[1,0] neg_lo:[0,1] neg_hi:[0,1]
	v_pk_add_f32 v[10:11], v[10:11], v[48:49] op_sel:[0,1] op_sel_hi:[1,0]
	v_pk_add_f32 v[48:49], v[56:57], v[52:53] op_sel:[0,1] op_sel_hi:[1,0] neg_lo:[0,1] neg_hi:[0,1]
	v_pk_add_f32 v[56:57], v[76:77], v[82:83]
	v_pk_add_f32 v[58:59], v[80:81], v[82:83] neg_lo:[0,1] neg_hi:[0,1]
	v_pk_fma_f32 v[6:7], v[56:57], 0.5, v[6:7] op_sel_hi:[1,0,1] neg_lo:[1,0,0] neg_hi:[1,0,0]
	v_pk_add_f32 v[56:57], v[78:79], v[76:77] neg_lo:[0,1] neg_hi:[0,1]
	v_pk_mul_f32 v[50:51], v[50:51], s[2:3] op_sel_hi:[1,0]
	v_pk_add_f32 v[56:57], v[56:57], v[58:59]
	v_pk_mul_f32 v[12:13], v[12:13], s[6:7] op_sel_hi:[1,0]
	v_pk_add_f32 v[58:59], v[6:7], v[50:51] op_sel:[0,1] op_sel_hi:[1,0]
	v_pk_add_f32 v[6:7], v[6:7], v[50:51] op_sel:[0,1] op_sel_hi:[1,0] neg_lo:[0,1] neg_hi:[0,1]
	v_pk_add_f32 v[10:11], v[10:11], v[52:53] op_sel:[0,1] op_sel_hi:[1,0]
	v_pk_add_f32 v[6:7], v[6:7], v[12:13] op_sel:[0,1] op_sel_hi:[1,0]
	v_pk_add_f32 v[12:13], v[58:59], v[12:13] op_sel:[0,1] op_sel_hi:[1,0] neg_lo:[0,1] neg_hi:[0,1]
	v_mov_b32_e32 v52, v48
	v_mov_b32_e32 v53, v11
	;; [unrolled: 1-line block ×6, first 2 shown]
	v_pk_fma_f32 v[52:53], v[54:55], s[0:1], v[52:53] op_sel_hi:[1,0,1]
	v_pk_fma_f32 v[50:51], v[56:57], s[0:1], v[50:51] op_sel_hi:[1,0,1]
	;; [unrolled: 1-line block ×4, first 2 shown]
	v_add_u32_e32 v12, 0x800, v126
	ds_write2_b64 v126, v[52:53], v[50:51] offset0:119 offset1:238
	ds_write2_b64 v12, v[6:7], v[10:11] offset0:101 offset1:220
	;; [unrolled: 1-line block ×3, first 2 shown]
	v_pk_add_f32 v[6:7], v[88:89], v[90:91]
	v_pk_add_f32 v[10:11], v[86:87], v[92:93] neg_lo:[0,1] neg_hi:[0,1]
	v_pk_fma_f32 v[6:7], v[6:7], 0.5, v[8:9] op_sel_hi:[1,0,1] neg_lo:[1,0,0] neg_hi:[1,0,0]
	v_pk_mul_f32 v[12:13], v[10:11], s[2:3] op_sel_hi:[1,0]
	v_pk_add_f32 v[48:49], v[88:89], v[90:91] neg_lo:[0,1] neg_hi:[0,1]
	v_pk_add_f32 v[52:53], v[86:87], v[88:89] neg_lo:[0,1] neg_hi:[0,1]
	;; [unrolled: 1-line block ×3, first 2 shown]
	v_pk_mul_f32 v[50:51], v[48:49], s[6:7] op_sel_hi:[1,0]
	v_pk_add_f32 v[52:53], v[52:53], v[54:55]
	v_pk_add_f32 v[54:55], v[6:7], v[12:13] op_sel:[0,1] op_sel_hi:[1,0] neg_lo:[0,1] neg_hi:[0,1]
	v_pk_add_f32 v[6:7], v[6:7], v[12:13] op_sel:[0,1] op_sel_hi:[1,0]
	v_pk_add_f32 v[12:13], v[54:55], v[50:51] op_sel:[0,1] op_sel_hi:[1,0] neg_lo:[0,1] neg_hi:[0,1]
	v_pk_add_f32 v[54:55], v[86:87], v[92:93]
	v_pk_add_f32 v[56:57], v[90:91], v[92:93] neg_lo:[0,1] neg_hi:[0,1]
	v_pk_fma_f32 v[8:9], v[54:55], 0.5, v[8:9] op_sel_hi:[1,0,1] neg_lo:[1,0,0] neg_hi:[1,0,0]
	v_pk_add_f32 v[54:55], v[88:89], v[86:87] neg_lo:[0,1] neg_hi:[0,1]
	v_pk_mul_f32 v[48:49], v[48:49], s[2:3] op_sel_hi:[1,0]
	v_pk_add_f32 v[54:55], v[54:55], v[56:57]
	v_pk_mul_f32 v[10:11], v[10:11], s[6:7] op_sel_hi:[1,0]
	v_pk_add_f32 v[56:57], v[8:9], v[48:49] op_sel:[0,1] op_sel_hi:[1,0]
	v_pk_add_f32 v[8:9], v[8:9], v[48:49] op_sel:[0,1] op_sel_hi:[1,0] neg_lo:[0,1] neg_hi:[0,1]
	v_pk_add_f32 v[6:7], v[6:7], v[50:51] op_sel:[0,1] op_sel_hi:[1,0]
	v_pk_add_f32 v[8:9], v[8:9], v[10:11] op_sel:[0,1] op_sel_hi:[1,0]
	v_pk_add_f32 v[10:11], v[56:57], v[10:11] op_sel:[0,1] op_sel_hi:[1,0] neg_lo:[0,1] neg_hi:[0,1]
	v_mov_b32_e32 v51, v7
	v_mov_b32_e32 v49, v9
	;; [unrolled: 1-line block ×6, first 2 shown]
	v_pk_fma_f32 v[8:9], v[54:55], s[0:1], v[8:9] op_sel_hi:[1,0,1]
	v_pk_fma_f32 v[6:7], v[52:53], s[0:1], v[6:7] op_sel_hi:[1,0,1]
	v_add_u32_e32 v10, 0x800, v146
	v_pk_fma_f32 v[50:51], v[52:53], s[0:1], v[50:51] op_sel_hi:[1,0,1]
	v_pk_fma_f32 v[48:49], v[54:55], s[0:1], v[48:49] op_sel_hi:[1,0,1]
	ds_write2_b64 v10, v[8:9], v[6:7] offset0:101 offset1:220
	v_pk_add_f32 v[6:7], v[38:39], v[96:97]
	v_pk_add_f32 v[8:9], v[32:33], v[98:99] neg_lo:[0,1] neg_hi:[0,1]
	ds_write2_b64 v146, v[50:51], v[48:49] offset0:119 offset1:238
	v_pk_fma_f32 v[6:7], v[6:7], 0.5, v[2:3] op_sel_hi:[1,0,1] neg_lo:[1,0,0] neg_hi:[1,0,0]
	v_pk_mul_f32 v[10:11], v[8:9], s[2:3] op_sel_hi:[1,0]
	v_pk_add_f32 v[12:13], v[38:39], v[96:97] neg_lo:[0,1] neg_hi:[0,1]
	v_pk_add_f32 v[50:51], v[32:33], v[38:39] neg_lo:[0,1] neg_hi:[0,1]
	;; [unrolled: 1-line block ×3, first 2 shown]
	v_pk_mul_f32 v[48:49], v[12:13], s[6:7] op_sel_hi:[1,0]
	v_pk_add_f32 v[50:51], v[50:51], v[52:53]
	v_pk_add_f32 v[52:53], v[6:7], v[10:11] op_sel:[0,1] op_sel_hi:[1,0] neg_lo:[0,1] neg_hi:[0,1]
	v_pk_add_f32 v[6:7], v[6:7], v[10:11] op_sel:[0,1] op_sel_hi:[1,0]
	v_pk_add_f32 v[10:11], v[52:53], v[48:49] op_sel:[0,1] op_sel_hi:[1,0] neg_lo:[0,1] neg_hi:[0,1]
	v_pk_add_f32 v[52:53], v[32:33], v[98:99]
	v_pk_add_f32 v[32:33], v[38:39], v[32:33] neg_lo:[0,1] neg_hi:[0,1]
	v_pk_fma_f32 v[2:3], v[52:53], 0.5, v[2:3] op_sel_hi:[1,0,1] neg_lo:[1,0,0] neg_hi:[1,0,0]
	v_pk_add_f32 v[38:39], v[96:97], v[98:99] neg_lo:[0,1] neg_hi:[0,1]
	v_pk_mul_f32 v[12:13], v[12:13], s[2:3] op_sel_hi:[1,0]
	v_pk_add_f32 v[32:33], v[32:33], v[38:39]
	v_pk_mul_f32 v[8:9], v[8:9], s[6:7] op_sel_hi:[1,0]
	v_pk_add_f32 v[38:39], v[2:3], v[12:13] op_sel:[0,1] op_sel_hi:[1,0]
	v_pk_add_f32 v[2:3], v[2:3], v[12:13] op_sel:[0,1] op_sel_hi:[1,0] neg_lo:[0,1] neg_hi:[0,1]
	v_pk_add_f32 v[6:7], v[6:7], v[48:49] op_sel:[0,1] op_sel_hi:[1,0]
	v_pk_add_f32 v[2:3], v[2:3], v[8:9] op_sel:[0,1] op_sel_hi:[1,0]
	v_pk_add_f32 v[8:9], v[38:39], v[8:9] op_sel:[0,1] op_sel_hi:[1,0] neg_lo:[0,1] neg_hi:[0,1]
	v_mov_b32_e32 v48, v10
	v_mov_b32_e32 v49, v7
	;; [unrolled: 1-line block ×6, first 2 shown]
	v_pk_fma_f32 v[48:49], v[50:51], s[0:1], v[48:49] op_sel_hi:[1,0,1]
	v_pk_fma_f32 v[12:13], v[32:33], s[0:1], v[12:13] op_sel_hi:[1,0,1]
	v_pk_fma_f32 v[2:3], v[32:33], s[0:1], v[2:3] op_sel_hi:[1,0,1]
	v_pk_fma_f32 v[6:7], v[50:51], s[0:1], v[6:7] op_sel_hi:[1,0,1]
	v_add_u32_e32 v8, 0x800, v122
	ds_write2_b64 v122, v[48:49], v[12:13] offset0:119 offset1:238
	ds_write2_b64 v8, v[2:3], v[6:7] offset0:101 offset1:220
	ds_write2_b64 v43, v[36:37], v[44:45] offset0:68 offset1:85
	v_pk_add_f32 v[2:3], v[28:29], v[30:31]
	v_pk_add_f32 v[6:7], v[26:27], v[34:35] neg_lo:[0,1] neg_hi:[0,1]
	v_pk_fma_f32 v[2:3], v[2:3], 0.5, v[4:5] op_sel_hi:[1,0,1] neg_lo:[1,0,0] neg_hi:[1,0,0]
	v_pk_mul_f32 v[8:9], v[6:7], s[2:3] op_sel_hi:[1,0]
	v_pk_add_f32 v[10:11], v[28:29], v[30:31] neg_lo:[0,1] neg_hi:[0,1]
	v_pk_add_f32 v[32:33], v[26:27], v[28:29] neg_lo:[0,1] neg_hi:[0,1]
	;; [unrolled: 1-line block ×3, first 2 shown]
	v_pk_mul_f32 v[12:13], v[10:11], s[6:7] op_sel_hi:[1,0]
	v_pk_add_f32 v[32:33], v[32:33], v[36:37]
	v_pk_add_f32 v[36:37], v[2:3], v[8:9] op_sel:[0,1] op_sel_hi:[1,0] neg_lo:[0,1] neg_hi:[0,1]
	v_pk_add_f32 v[2:3], v[2:3], v[8:9] op_sel:[0,1] op_sel_hi:[1,0]
	v_pk_add_f32 v[8:9], v[36:37], v[12:13] op_sel:[0,1] op_sel_hi:[1,0] neg_lo:[0,1] neg_hi:[0,1]
	v_pk_add_f32 v[36:37], v[26:27], v[34:35]
	v_pk_add_f32 v[26:27], v[28:29], v[26:27] neg_lo:[0,1] neg_hi:[0,1]
	v_pk_fma_f32 v[4:5], v[36:37], 0.5, v[4:5] op_sel_hi:[1,0,1] neg_lo:[1,0,0] neg_hi:[1,0,0]
	v_pk_add_f32 v[28:29], v[30:31], v[34:35] neg_lo:[0,1] neg_hi:[0,1]
	v_pk_mul_f32 v[10:11], v[10:11], s[2:3] op_sel_hi:[1,0]
	v_pk_add_f32 v[26:27], v[26:27], v[28:29]
	v_pk_mul_f32 v[6:7], v[6:7], s[6:7] op_sel_hi:[1,0]
	v_pk_add_f32 v[28:29], v[4:5], v[10:11] op_sel:[0,1] op_sel_hi:[1,0]
	v_pk_add_f32 v[4:5], v[4:5], v[10:11] op_sel:[0,1] op_sel_hi:[1,0] neg_lo:[0,1] neg_hi:[0,1]
	v_mov_b32_e32 v25, v47
	v_pk_add_f32 v[46:47], v[0:1], v[18:19]
	v_pk_add_f32 v[2:3], v[2:3], v[12:13] op_sel:[0,1] op_sel_hi:[1,0]
	v_pk_add_f32 v[4:5], v[4:5], v[6:7] op_sel:[0,1] op_sel_hi:[1,0]
	v_pk_add_f32 v[6:7], v[28:29], v[6:7] op_sel:[0,1] op_sel_hi:[1,0] neg_lo:[0,1] neg_hi:[0,1]
	v_pk_add_f32 v[46:47], v[46:47], v[20:21]
	v_mov_b32_e32 v12, v8
	v_mov_b32_e32 v13, v3
	;; [unrolled: 1-line block ×6, first 2 shown]
	v_pk_add_f32 v[46:47], v[46:47], v[22:23]
	v_pk_fma_f32 v[12:13], v[32:33], s[0:1], v[12:13] op_sel_hi:[1,0,1]
	v_pk_fma_f32 v[10:11], v[26:27], s[0:1], v[10:11] op_sel_hi:[1,0,1]
	;; [unrolled: 1-line block ×4, first 2 shown]
	v_add_u32_e32 v6, 0x800, v115
	v_pk_add_f32 v[46:47], v[46:47], v[24:25]
	ds_write2_b64 v115, v[12:13], v[10:11] offset0:119 offset1:238
	ds_write2_b64 v6, v[4:5], v[2:3] offset0:101 offset1:220
	ds_write_b64 v43, v[46:47] offset:816
	v_pk_add_f32 v[2:3], v[20:21], v[22:23]
	v_pk_add_f32 v[4:5], v[18:19], v[24:25] neg_lo:[0,1] neg_hi:[0,1]
	v_pk_fma_f32 v[2:3], v[2:3], 0.5, v[0:1] op_sel_hi:[1,0,1] neg_lo:[1,0,0] neg_hi:[1,0,0]
	v_pk_mul_f32 v[6:7], v[4:5], s[2:3] op_sel_hi:[1,0]
	v_pk_add_f32 v[8:9], v[20:21], v[22:23] neg_lo:[0,1] neg_hi:[0,1]
	v_pk_add_f32 v[12:13], v[18:19], v[20:21] neg_lo:[0,1] neg_hi:[0,1]
	v_pk_add_f32 v[26:27], v[24:25], v[22:23] neg_lo:[0,1] neg_hi:[0,1]
	v_pk_mul_f32 v[10:11], v[8:9], s[6:7] op_sel_hi:[1,0]
	v_pk_add_f32 v[12:13], v[12:13], v[26:27]
	v_pk_add_f32 v[26:27], v[2:3], v[6:7] op_sel:[0,1] op_sel_hi:[1,0] neg_lo:[0,1] neg_hi:[0,1]
	v_pk_add_f32 v[2:3], v[2:3], v[6:7] op_sel:[0,1] op_sel_hi:[1,0]
	v_pk_add_f32 v[6:7], v[26:27], v[10:11] op_sel:[0,1] op_sel_hi:[1,0] neg_lo:[0,1] neg_hi:[0,1]
	v_pk_add_f32 v[26:27], v[18:19], v[24:25]
	v_pk_add_f32 v[18:19], v[20:21], v[18:19] neg_lo:[0,1] neg_hi:[0,1]
	v_pk_fma_f32 v[0:1], v[26:27], 0.5, v[0:1] op_sel_hi:[1,0,1] neg_lo:[1,0,0] neg_hi:[1,0,0]
	v_pk_add_f32 v[20:21], v[22:23], v[24:25] neg_lo:[0,1] neg_hi:[0,1]
	v_pk_mul_f32 v[8:9], v[8:9], s[2:3] op_sel_hi:[1,0]
	v_pk_add_f32 v[18:19], v[18:19], v[20:21]
	v_pk_mul_f32 v[4:5], v[4:5], s[6:7] op_sel_hi:[1,0]
	v_pk_add_f32 v[20:21], v[0:1], v[8:9] op_sel:[0,1] op_sel_hi:[1,0]
	v_pk_add_f32 v[0:1], v[0:1], v[8:9] op_sel:[0,1] op_sel_hi:[1,0] neg_lo:[0,1] neg_hi:[0,1]
	v_pk_add_f32 v[2:3], v[2:3], v[10:11] op_sel:[0,1] op_sel_hi:[1,0]
	v_pk_add_f32 v[0:1], v[0:1], v[4:5] op_sel:[0,1] op_sel_hi:[1,0]
	v_pk_add_f32 v[4:5], v[20:21], v[4:5] op_sel:[0,1] op_sel_hi:[1,0] neg_lo:[0,1] neg_hi:[0,1]
	v_mov_b32_e32 v10, v6
	v_mov_b32_e32 v11, v3
	;; [unrolled: 1-line block ×6, first 2 shown]
	v_pk_fma_f32 v[10:11], v[12:13], s[0:1], v[10:11] op_sel_hi:[1,0,1]
	v_pk_fma_f32 v[8:9], v[18:19], s[0:1], v[8:9] op_sel_hi:[1,0,1]
	;; [unrolled: 1-line block ×4, first 2 shown]
	v_add_u32_e32 v4, 0x800, v105
	ds_write2_b64 v105, v[10:11], v[8:9] offset0:119 offset1:238
	ds_write2_b64 v4, v[0:1], v[2:3] offset0:101 offset1:220
	s_waitcnt lgkmcnt(0)
	; wave barrier
	s_waitcnt lgkmcnt(0)
	ds_read2_b64 v[10:13], v43 offset1:17
	v_mov_b32_e32 v0, v17
	v_accvgpr_read_b32 v2, a44
	v_mad_u64_u32 v[0:1], s[0:1], s7, v104, v[0:1]
	v_accvgpr_read_b32 v3, a45
	v_mov_b32_e32 v17, v0
	s_waitcnt lgkmcnt(0)
	v_mul_f32_e32 v0, v3, v11
	v_fmac_f32_e32 v0, v2, v10
	s_mov_b32 s0, 0x1b89401c
	v_cvt_f64_f32_e32 v[0:1], v0
	s_mov_b32 s1, 0x3f5b8940
	v_mul_f64 v[0:1], v[0:1], s[0:1]
	v_cvt_f32_f64_e32 v4, v[0:1]
	v_mul_f32_e32 v0, v3, v10
	v_fma_f32 v0, v2, v11, -v0
	scratch_load_dwordx2 v[10:11], off, off offset:236 ; 8-byte Folded Reload
	v_cvt_f64_f32_e32 v[0:1], v0
	v_accvgpr_read_b32 v2, a24
	v_mul_f64 v[0:1], v[0:1], s[0:1]
	v_mad_u64_u32 v[6:7], s[2:3], s4, v2, 0
	v_cvt_f32_f64_e32 v5, v[0:1]
	v_mov_b32_e32 v0, v7
	v_mad_u64_u32 v[8:9], s[2:3], s5, v2, v[0:1]
	ds_read2_b64 v[0:3], v43 offset0:68 offset1:85
	v_mov_b32_e32 v7, v8
	v_lshl_add_u64 v[8:9], v[16:17], 3, v[14:15]
	v_lshl_add_u64 v[6:7], v[6:7], 3, v[8:9]
	global_store_dwordx2 v[6:7], v[4:5], off
	ds_read2_b64 v[14:17], v43 offset0:170 offset1:187
	s_waitcnt vmcnt(1) lgkmcnt(1)
	v_mul_f32_e32 v4, v11, v3
	v_fmac_f32_e32 v4, v10, v2
	v_mul_f32_e32 v2, v11, v2
	v_fma_f32 v2, v10, v3, -v2
	v_mov_b32_e32 v10, 0x2a8
	v_cvt_f64_f32_e32 v[4:5], v4
	v_cvt_f64_f32_e32 v[2:3], v2
	v_mad_u64_u32 v[6:7], s[2:3], s4, v10, v[6:7]
	v_mul_f64 v[4:5], v[4:5], s[0:1]
	v_mul_f64 v[2:3], v[2:3], s[0:1]
	s_mul_i32 s2, s5, 0x2a8
	v_cvt_f32_f64_e32 v4, v[4:5]
	v_cvt_f32_f64_e32 v5, v[2:3]
	v_add_u32_e32 v7, s2, v7
	global_store_dwordx2 v[6:7], v[4:5], off
	v_accvgpr_read_b32 v4, a38
	v_accvgpr_read_b32 v5, a39
	s_waitcnt lgkmcnt(0)
	v_mul_f32_e32 v2, v5, v15
	v_fmac_f32_e32 v2, v4, v14
	v_cvt_f64_f32_e32 v[2:3], v2
	v_mul_f64 v[2:3], v[2:3], s[0:1]
	v_cvt_f32_f64_e32 v18, v[2:3]
	v_mul_f32_e32 v2, v5, v14
	v_fma_f32 v2, v4, v15, -v2
	v_cvt_f64_f32_e32 v[2:3], v2
	v_mul_f64 v[2:3], v[2:3], s[0:1]
	v_mad_u64_u32 v[6:7], s[6:7], s4, v10, v[6:7]
	v_cvt_f32_f64_e32 v19, v[2:3]
	v_add_u32_e32 v7, s2, v7
	global_store_dwordx2 v[6:7], v[18:19], off
	scratch_load_dwordx2 v[18:19], off, off offset:260 ; 8-byte Folded Reload
	v_mad_u64_u32 v[22:23], s[6:7], s4, v10, v[6:7]
	scratch_load_dwordx2 v[6:7], off, off offset:228 ; 8-byte Folded Reload
	ds_read2_b64 v[2:5], v43 offset0:238 offset1:255
	v_add_u32_e32 v23, s2, v23
	s_mul_i32 s3, s5, 0xfffff098
	s_sub_i32 s3, s3, s4
	s_waitcnt vmcnt(1) lgkmcnt(0)
	v_mul_f32_e32 v11, v19, v5
	v_fmac_f32_e32 v11, v18, v4
	v_mul_f32_e32 v4, v19, v4
	v_fma_f32 v4, v18, v5, -v4
	ds_read2_b64 v[18:21], v40 offset0:84 offset1:101
	v_cvt_f64_f32_e32 v[14:15], v11
	v_cvt_f64_f32_e32 v[4:5], v4
	v_mul_f64 v[14:15], v[14:15], s[0:1]
	v_mul_f64 v[4:5], v[4:5], s[0:1]
	v_cvt_f32_f64_e32 v14, v[14:15]
	v_cvt_f32_f64_e32 v15, v[4:5]
	s_waitcnt vmcnt(0) lgkmcnt(0)
	v_mul_f32_e32 v4, v7, v19
	v_fmac_f32_e32 v4, v6, v18
	v_cvt_f64_f32_e32 v[4:5], v4
	v_mul_f64 v[4:5], v[4:5], s[0:1]
	global_store_dwordx2 v[22:23], v[14:15], off
	v_cvt_f32_f64_e32 v14, v[4:5]
	v_mul_f32_e32 v4, v7, v18
	v_fma_f32 v4, v6, v19, -v4
	v_mad_u64_u32 v[18:19], s[6:7], s4, v10, v[22:23]
	scratch_load_dwordx2 v[22:23], off, off offset:244 ; 8-byte Folded Reload
	v_cvt_f64_f32_e32 v[4:5], v4
	v_mul_f64 v[4:5], v[4:5], s[0:1]
	v_cvt_f32_f64_e32 v15, v[4:5]
	ds_read2_b64 v[4:7], v40 offset0:152 offset1:169
	v_add_u32_e32 v19, s2, v19
	global_store_dwordx2 v[18:19], v[14:15], off
	s_waitcnt vmcnt(1) lgkmcnt(0)
	v_mul_f32_e32 v11, v23, v7
	v_fmac_f32_e32 v11, v22, v6
	v_mul_f32_e32 v6, v23, v6
	v_fma_f32 v6, v22, v7, -v6
	v_cvt_f64_f32_e32 v[14:15], v11
	v_cvt_f64_f32_e32 v[6:7], v6
	v_mul_f64 v[14:15], v[14:15], s[0:1]
	v_mul_f64 v[6:7], v[6:7], s[0:1]
	v_cvt_f32_f64_e32 v14, v[14:15]
	v_cvt_f32_f64_e32 v15, v[6:7]
	v_mad_u64_u32 v[6:7], s[6:7], s4, v10, v[18:19]
	scratch_load_dwordx2 v[18:19], off, off offset:252 ; 8-byte Folded Reload
	ds_read2_b64 v[22:25], v42 offset0:126 offset1:143
	v_add_u32_e32 v7, s2, v7
	global_store_dwordx2 v[6:7], v[14:15], off
	v_mad_u64_u32 v[6:7], s[6:7], s4, v10, v[6:7]
	v_add_u32_e32 v7, s2, v7
	s_waitcnt vmcnt(1) lgkmcnt(0)
	v_mul_f32_e32 v11, v19, v23
	v_fmac_f32_e32 v11, v18, v22
	v_cvt_f64_f32_e32 v[14:15], v11
	v_mul_f32_e32 v11, v19, v22
	v_fma_f32 v11, v18, v23, -v11
	scratch_load_dwordx2 v[22:23], off, off offset:220 ; 8-byte Folded Reload
	v_cvt_f64_f32_e32 v[18:19], v11
	v_mul_f64 v[14:15], v[14:15], s[0:1]
	v_mul_f64 v[18:19], v[18:19], s[0:1]
	v_cvt_f32_f64_e32 v14, v[14:15]
	v_cvt_f32_f64_e32 v15, v[18:19]
	global_store_dwordx2 v[6:7], v[14:15], off
	s_waitcnt vmcnt(1)
	v_mul_f32_e32 v11, v23, v13
	v_fmac_f32_e32 v11, v22, v12
	v_cvt_f64_f32_e32 v[14:15], v11
	v_mul_f32_e32 v11, v23, v12
	v_fma_f32 v11, v22, v13, -v11
	scratch_load_dwordx2 v[22:23], off, off offset:212 ; 8-byte Folded Reload
	v_cvt_f64_f32_e32 v[12:13], v11
	v_mul_f64 v[14:15], v[14:15], s[0:1]
	v_mul_f64 v[12:13], v[12:13], s[0:1]
	v_cvt_f32_f64_e32 v18, v[14:15]
	v_cvt_f32_f64_e32 v19, v[12:13]
	ds_read2_b64 v[12:15], v43 offset0:102 offset1:119
	v_mov_b32_e32 v11, 0xfffff098
	v_mad_u64_u32 v[6:7], s[6:7], s4, v11, v[6:7]
	v_add_u32_e32 v7, s3, v7
	global_store_dwordx2 v[6:7], v[18:19], off
	v_mad_u64_u32 v[6:7], s[6:7], s4, v10, v[6:7]
	v_add_u32_e32 v7, s2, v7
	s_waitcnt vmcnt(1) lgkmcnt(0)
	v_mul_f32_e32 v18, v23, v13
	v_fmac_f32_e32 v18, v22, v12
	v_mul_f32_e32 v12, v23, v12
	v_fma_f32 v12, v22, v13, -v12
	v_cvt_f64_f32_e32 v[18:19], v18
	v_cvt_f64_f32_e32 v[12:13], v12
	v_mul_f64 v[18:19], v[18:19], s[0:1]
	v_mul_f64 v[12:13], v[12:13], s[0:1]
	v_cvt_f32_f64_e32 v18, v[18:19]
	v_cvt_f32_f64_e32 v19, v[12:13]
	global_store_dwordx2 v[6:7], v[18:19], off
	scratch_load_dwordx2 v[18:19], off, off offset:204 ; 8-byte Folded Reload
	v_mad_u64_u32 v[6:7], s[6:7], s4, v10, v[6:7]
	scratch_load_dwordx2 v[22:23], off, off offset:196 ; 8-byte Folded Reload
	v_add_u32_e32 v7, s2, v7
	s_waitcnt vmcnt(1)
	v_mul_f32_e32 v12, v19, v17
	v_fmac_f32_e32 v12, v18, v16
	v_cvt_f64_f32_e32 v[12:13], v12
	v_mul_f64 v[12:13], v[12:13], s[0:1]
	v_cvt_f32_f64_e32 v12, v[12:13]
	v_mul_f32_e32 v13, v19, v16
	v_fma_f32 v13, v18, v17, -v13
	v_cvt_f64_f32_e32 v[16:17], v13
	v_mul_f64 v[16:17], v[16:17], s[0:1]
	v_cvt_f32_f64_e32 v13, v[16:17]
	ds_read2_b64 v[16:19], v40 offset0:16 offset1:33
	global_store_dwordx2 v[6:7], v[12:13], off
	v_mad_u64_u32 v[6:7], s[6:7], s4, v10, v[6:7]
	v_add_u32_e32 v7, s2, v7
	s_waitcnt vmcnt(1) lgkmcnt(0)
	v_mul_f32_e32 v12, v23, v17
	v_fmac_f32_e32 v12, v22, v16
	v_cvt_f64_f32_e32 v[12:13], v12
	v_mul_f64 v[12:13], v[12:13], s[0:1]
	v_cvt_f32_f64_e32 v12, v[12:13]
	v_mul_f32_e32 v13, v23, v16
	v_fma_f32 v13, v22, v17, -v13
	v_cvt_f64_f32_e32 v[16:17], v13
	v_mul_f64 v[16:17], v[16:17], s[0:1]
	v_cvt_f32_f64_e32 v13, v[16:17]
	scratch_load_dwordx2 v[16:17], off, off offset:188 ; 8-byte Folded Reload
	s_nop 0
	global_store_dwordx2 v[6:7], v[12:13], off
	v_mad_u64_u32 v[6:7], s[6:7], s4, v10, v[6:7]
	v_add_u32_e32 v7, s2, v7
	s_waitcnt vmcnt(1)
	v_mul_f32_e32 v12, v17, v21
	v_fmac_f32_e32 v12, v16, v20
	v_cvt_f64_f32_e32 v[12:13], v12
	v_mul_f64 v[12:13], v[12:13], s[0:1]
	v_cvt_f32_f64_e32 v12, v[12:13]
	v_mul_f32_e32 v13, v17, v20
	v_fma_f32 v13, v16, v21, -v13
	v_cvt_f64_f32_e32 v[16:17], v13
	v_mul_f64 v[16:17], v[16:17], s[0:1]
	v_cvt_f32_f64_e32 v13, v[16:17]
	scratch_load_dwordx2 v[16:17], off, off offset:172 ; 8-byte Folded Reload
	ds_read2_b64 v[20:23], v40 offset0:186 offset1:203
	global_store_dwordx2 v[6:7], v[12:13], off
	v_mad_u64_u32 v[6:7], s[6:7], s4, v10, v[6:7]
	v_add_u32_e32 v7, s2, v7
	s_waitcnt vmcnt(1) lgkmcnt(0)
	v_mul_f32_e32 v12, v17, v21
	v_fmac_f32_e32 v12, v16, v20
	v_cvt_f64_f32_e32 v[12:13], v12
	v_mul_f64 v[12:13], v[12:13], s[0:1]
	v_cvt_f32_f64_e32 v12, v[12:13]
	v_mul_f32_e32 v13, v17, v20
	v_fma_f32 v13, v16, v21, -v13
	v_cvt_f64_f32_e32 v[16:17], v13
	v_mul_f64 v[16:17], v[16:17], s[0:1]
	v_cvt_f32_f64_e32 v13, v[16:17]
	scratch_load_dwordx2 v[16:17], off, off offset:180 ; 8-byte Folded Reload
	scratch_load_dwordx2 v[20:21], off, off offset:132 ; 8-byte Folded Reload
	s_nop 0
	global_store_dwordx2 v[6:7], v[12:13], off
	v_mad_u64_u32 v[6:7], s[6:7], s4, v10, v[6:7]
	v_add_u32_e32 v7, s2, v7
	s_waitcnt vmcnt(2)
	v_mul_f32_e32 v12, v17, v25
	v_fmac_f32_e32 v12, v16, v24
	v_cvt_f64_f32_e32 v[12:13], v12
	v_mul_f64 v[12:13], v[12:13], s[0:1]
	v_cvt_f32_f64_e32 v12, v[12:13]
	v_mul_f32_e32 v13, v17, v24
	v_fma_f32 v13, v16, v25, -v13
	v_cvt_f64_f32_e32 v[16:17], v13
	v_mul_f64 v[16:17], v[16:17], s[0:1]
	v_cvt_f32_f64_e32 v13, v[16:17]
	scratch_load_dwordx2 v[16:17], off, off offset:148 ; 8-byte Folded Reload
	ds_read2_b64 v[24:27], v43 offset0:34 offset1:51
	global_store_dwordx2 v[6:7], v[12:13], off
	v_mad_u64_u32 v[6:7], s[6:7], s4, v11, v[6:7]
	v_add_u32_e32 v7, s3, v7
	s_waitcnt vmcnt(1) lgkmcnt(0)
	v_mul_f32_e32 v12, v17, v25
	v_fmac_f32_e32 v12, v16, v24
	v_cvt_f64_f32_e32 v[12:13], v12
	v_mul_f64 v[12:13], v[12:13], s[0:1]
	v_cvt_f32_f64_e32 v12, v[12:13]
	v_mul_f32_e32 v13, v17, v24
	v_fma_f32 v13, v16, v25, -v13
	v_cvt_f64_f32_e32 v[16:17], v13
	v_mul_f64 v[16:17], v[16:17], s[0:1]
	v_cvt_f32_f64_e32 v13, v[16:17]
	global_store_dwordx2 v[6:7], v[12:13], off
	v_mul_f32_e32 v12, v21, v15
	v_fmac_f32_e32 v12, v20, v14
	v_cvt_f64_f32_e32 v[12:13], v12
	v_mul_f64 v[12:13], v[12:13], s[0:1]
	v_cvt_f32_f64_e32 v16, v[12:13]
	v_mul_f32_e32 v12, v21, v14
	v_fma_f32 v12, v20, v15, -v12
	scratch_load_dwordx2 v[20:21], off, off offset:164 ; 8-byte Folded Reload
	v_cvt_f64_f32_e32 v[12:13], v12
	v_mul_f64 v[12:13], v[12:13], s[0:1]
	v_cvt_f32_f64_e32 v17, v[12:13]
	ds_read2_b64 v[12:15], v43 offset0:204 offset1:221
	v_mad_u64_u32 v[6:7], s[6:7], s4, v10, v[6:7]
	v_add_u32_e32 v7, s2, v7
	global_store_dwordx2 v[6:7], v[16:17], off
	v_mad_u64_u32 v[6:7], s[6:7], s4, v10, v[6:7]
	v_add_u32_e32 v7, s2, v7
	s_waitcnt vmcnt(1) lgkmcnt(0)
	v_mul_f32_e32 v16, v21, v13
	v_fmac_f32_e32 v16, v20, v12
	v_mul_f32_e32 v12, v21, v12
	v_fma_f32 v12, v20, v13, -v12
	v_cvt_f64_f32_e32 v[16:17], v16
	v_cvt_f64_f32_e32 v[12:13], v12
	v_mul_f64 v[16:17], v[16:17], s[0:1]
	v_mul_f64 v[12:13], v[12:13], s[0:1]
	v_cvt_f32_f64_e32 v16, v[16:17]
	v_cvt_f32_f64_e32 v17, v[12:13]
	global_store_dwordx2 v[6:7], v[16:17], off
	scratch_load_dwordx2 v[16:17], off, off offset:156 ; 8-byte Folded Reload
	v_mad_u64_u32 v[6:7], s[6:7], s4, v10, v[6:7]
	scratch_load_dwordx2 v[20:21], off, off offset:140 ; 8-byte Folded Reload
	v_add_u32_e32 v7, s2, v7
	s_waitcnt vmcnt(1)
	v_mul_f32_e32 v12, v17, v19
	v_fmac_f32_e32 v12, v16, v18
	v_cvt_f64_f32_e32 v[12:13], v12
	v_mul_f64 v[12:13], v[12:13], s[0:1]
	v_cvt_f32_f64_e32 v12, v[12:13]
	v_mul_f32_e32 v13, v17, v18
	v_fma_f32 v13, v16, v19, -v13
	v_cvt_f64_f32_e32 v[16:17], v13
	v_mul_f64 v[16:17], v[16:17], s[0:1]
	v_cvt_f32_f64_e32 v13, v[16:17]
	ds_read2_b64 v[16:19], v40 offset0:118 offset1:135
	global_store_dwordx2 v[6:7], v[12:13], off
	v_mad_u64_u32 v[6:7], s[6:7], s4, v10, v[6:7]
	v_add_u32_e32 v7, s2, v7
	s_waitcnt vmcnt(1) lgkmcnt(0)
	v_mul_f32_e32 v12, v21, v17
	v_fmac_f32_e32 v12, v20, v16
	v_cvt_f64_f32_e32 v[12:13], v12
	v_mul_f64 v[12:13], v[12:13], s[0:1]
	v_cvt_f32_f64_e32 v12, v[12:13]
	v_mul_f32_e32 v13, v21, v16
	v_fma_f32 v13, v20, v17, -v13
	v_cvt_f64_f32_e32 v[16:17], v13
	v_mul_f64 v[16:17], v[16:17], s[0:1]
	v_cvt_f32_f64_e32 v13, v[16:17]
	scratch_load_dwordx2 v[16:17], off, off offset:124 ; 8-byte Folded Reload
	s_nop 0
	global_store_dwordx2 v[6:7], v[12:13], off
	v_mad_u64_u32 v[6:7], s[6:7], s4, v10, v[6:7]
	v_add_u32_e32 v7, s2, v7
	s_waitcnt vmcnt(1)
	v_mul_f32_e32 v12, v17, v23
	v_fmac_f32_e32 v12, v16, v22
	v_cvt_f64_f32_e32 v[12:13], v12
	v_mul_f64 v[12:13], v[12:13], s[0:1]
	v_cvt_f32_f64_e32 v12, v[12:13]
	v_mul_f32_e32 v13, v17, v22
	v_fma_f32 v13, v16, v23, -v13
	v_cvt_f64_f32_e32 v[16:17], v13
	v_mul_f64 v[16:17], v[16:17], s[0:1]
	v_cvt_f32_f64_e32 v13, v[16:17]
	scratch_load_dwordx2 v[16:17], off, off offset:116 ; 8-byte Folded Reload
	ds_read2_b64 v[20:23], v41 offset0:32 offset1:49
	global_store_dwordx2 v[6:7], v[12:13], off
	s_waitcnt vmcnt(1) lgkmcnt(0)
	v_mul_f32_e32 v12, v17, v21
	v_fmac_f32_e32 v12, v16, v20
	v_cvt_f64_f32_e32 v[12:13], v12
	v_mul_f64 v[12:13], v[12:13], s[0:1]
	v_cvt_f32_f64_e32 v12, v[12:13]
	v_mul_f32_e32 v13, v17, v20
	v_fma_f32 v13, v16, v21, -v13
	v_cvt_f64_f32_e32 v[16:17], v13
	v_mul_f64 v[16:17], v[16:17], s[0:1]
	v_accvgpr_read_b32 v21, a1
	v_cvt_f32_f64_e32 v13, v[16:17]
	v_mad_u64_u32 v[16:17], s[6:7], s4, v21, 0
	v_mov_b32_e32 v20, v17
	v_mad_u64_u32 v[20:21], s[6:7], s5, v21, v[20:21]
	v_mov_b32_e32 v17, v20
	v_lshl_add_u64 v[8:9], v[16:17], 3, v[8:9]
	scratch_load_dwordx2 v[16:17], off, off offset:108 ; 8-byte Folded Reload
	scratch_load_dwordx2 v[20:21], off, off offset:100 ; 8-byte Folded Reload
	s_mulk_i32 s5, 0xf340
	global_store_dwordx2 v[8:9], v[12:13], off
	s_sub_i32 s5, s5, s4
	s_waitcnt vmcnt(2)
	v_mul_f32_e32 v8, v17, v27
	v_fmac_f32_e32 v8, v16, v26
	v_cvt_f64_f32_e32 v[8:9], v8
	v_mul_f64 v[8:9], v[8:9], s[0:1]
	v_cvt_f32_f64_e32 v12, v[8:9]
	v_mul_f32_e32 v8, v17, v26
	v_fma_f32 v8, v16, v27, -v8
	v_cvt_f64_f32_e32 v[8:9], v8
	v_mul_f64 v[8:9], v[8:9], s[0:1]
	v_cvt_f32_f64_e32 v13, v[8:9]
	v_mov_b32_e32 v8, 0xfffff340
	v_mad_u64_u32 v[16:17], s[6:7], s4, v8, v[6:7]
	ds_read2_b64 v[6:9], v43 offset0:136 offset1:153
	v_add_u32_e32 v17, s5, v17
	global_store_dwordx2 v[16:17], v[12:13], off
	s_waitcnt vmcnt(2) lgkmcnt(0)
	v_mul_f32_e32 v12, v21, v7
	v_fmac_f32_e32 v12, v20, v6
	v_mul_f32_e32 v6, v21, v6
	v_fma_f32 v6, v20, v7, -v6
	scratch_load_dwordx2 v[20:21], off, off offset:92 ; 8-byte Folded Reload
	v_cvt_f64_f32_e32 v[12:13], v12
	v_cvt_f64_f32_e32 v[6:7], v6
	v_mul_f64 v[12:13], v[12:13], s[0:1]
	v_mul_f64 v[6:7], v[6:7], s[0:1]
	v_cvt_f32_f64_e32 v12, v[12:13]
	v_cvt_f32_f64_e32 v13, v[6:7]
	v_mad_u64_u32 v[6:7], s[6:7], s4, v10, v[16:17]
	v_add_u32_e32 v7, s2, v7
	global_store_dwordx2 v[6:7], v[12:13], off
	v_mad_u64_u32 v[6:7], s[6:7], s4, v10, v[6:7]
	v_add_u32_e32 v7, s2, v7
	s_waitcnt vmcnt(1)
	v_mul_f32_e32 v12, v21, v15
	v_fmac_f32_e32 v12, v20, v14
	v_cvt_f64_f32_e32 v[12:13], v12
	v_mul_f64 v[12:13], v[12:13], s[0:1]
	v_cvt_f32_f64_e32 v16, v[12:13]
	v_mul_f32_e32 v12, v21, v14
	v_fma_f32 v12, v20, v15, -v12
	scratch_load_dwordx2 v[20:21], off, off offset:84 ; 8-byte Folded Reload
	v_cvt_f64_f32_e32 v[12:13], v12
	v_mul_f64 v[12:13], v[12:13], s[0:1]
	v_cvt_f32_f64_e32 v17, v[12:13]
	ds_read2_b64 v[12:15], v40 offset0:50 offset1:67
	global_store_dwordx2 v[6:7], v[16:17], off
	v_mad_u64_u32 v[6:7], s[6:7], s4, v10, v[6:7]
	v_add_u32_e32 v7, s2, v7
	s_waitcnt vmcnt(1) lgkmcnt(0)
	v_mul_f32_e32 v16, v21, v13
	v_fmac_f32_e32 v16, v20, v12
	v_mul_f32_e32 v12, v21, v12
	v_fma_f32 v12, v20, v13, -v12
	v_cvt_f64_f32_e32 v[16:17], v16
	v_cvt_f64_f32_e32 v[12:13], v12
	v_mul_f64 v[16:17], v[16:17], s[0:1]
	v_mul_f64 v[12:13], v[12:13], s[0:1]
	v_cvt_f32_f64_e32 v16, v[16:17]
	v_cvt_f32_f64_e32 v17, v[12:13]
	global_store_dwordx2 v[6:7], v[16:17], off
	scratch_load_dwordx2 v[16:17], off, off offset:76 ; 8-byte Folded Reload
	v_mad_u64_u32 v[6:7], s[6:7], s4, v10, v[6:7]
	scratch_load_dwordx2 v[20:21], off, off offset:68 ; 8-byte Folded Reload
	v_add_u32_e32 v7, s2, v7
	s_waitcnt vmcnt(1)
	v_mul_f32_e32 v12, v17, v19
	v_fmac_f32_e32 v12, v16, v18
	v_cvt_f64_f32_e32 v[12:13], v12
	v_mul_f64 v[12:13], v[12:13], s[0:1]
	v_cvt_f32_f64_e32 v12, v[12:13]
	v_mul_f32_e32 v13, v17, v18
	v_fma_f32 v13, v16, v19, -v13
	v_cvt_f64_f32_e32 v[16:17], v13
	v_mul_f64 v[16:17], v[16:17], s[0:1]
	v_cvt_f32_f64_e32 v13, v[16:17]
	ds_read2_b64 v[16:19], v40 offset0:220 offset1:237
	global_store_dwordx2 v[6:7], v[12:13], off
	v_mad_u64_u32 v[6:7], s[6:7], s4, v10, v[6:7]
	v_add_u32_e32 v7, s2, v7
	s_waitcnt vmcnt(1) lgkmcnt(0)
	v_mul_f32_e32 v12, v21, v17
	v_fmac_f32_e32 v12, v20, v16
	v_cvt_f64_f32_e32 v[12:13], v12
	v_mul_f64 v[12:13], v[12:13], s[0:1]
	v_cvt_f32_f64_e32 v12, v[12:13]
	v_mul_f32_e32 v13, v21, v16
	v_fma_f32 v13, v20, v17, -v13
	v_cvt_f64_f32_e32 v[16:17], v13
	v_mul_f64 v[16:17], v[16:17], s[0:1]
	v_cvt_f32_f64_e32 v13, v[16:17]
	scratch_load_dwordx2 v[16:17], off, off offset:60 ; 8-byte Folded Reload
	s_nop 0
	global_store_dwordx2 v[6:7], v[12:13], off
	v_mad_u64_u32 v[6:7], s[6:7], s4, v10, v[6:7]
	v_add_u32_e32 v7, s2, v7
	s_waitcnt vmcnt(1)
	v_mul_f32_e32 v12, v17, v23
	v_fmac_f32_e32 v12, v16, v22
	v_cvt_f64_f32_e32 v[12:13], v12
	v_mul_f64 v[12:13], v[12:13], s[0:1]
	v_cvt_f32_f64_e32 v12, v[12:13]
	v_mul_f32_e32 v13, v17, v22
	v_fma_f32 v13, v16, v23, -v13
	v_cvt_f64_f32_e32 v[16:17], v13
	v_mul_f64 v[16:17], v[16:17], s[0:1]
	v_cvt_f32_f64_e32 v13, v[16:17]
	scratch_load_dwordx2 v[16:17], off, off offset:52 ; 8-byte Folded Reload
	s_nop 0
	global_store_dwordx2 v[6:7], v[12:13], off
	s_waitcnt vmcnt(1)
	v_mul_f32_e32 v12, v17, v1
	v_fmac_f32_e32 v12, v16, v0
	v_mul_f32_e32 v0, v17, v0
	v_fma_f32 v0, v16, v1, -v0
	v_cvt_f64_f32_e32 v[12:13], v12
	v_cvt_f64_f32_e32 v[0:1], v0
	v_mul_f64 v[12:13], v[12:13], s[0:1]
	v_mul_f64 v[0:1], v[0:1], s[0:1]
	v_cvt_f32_f64_e32 v12, v[12:13]
	v_cvt_f32_f64_e32 v13, v[0:1]
	v_mad_u64_u32 v[0:1], s[6:7], s4, v11, v[6:7]
	v_add_u32_e32 v1, s3, v1
	global_store_dwordx2 v[0:1], v[12:13], off
	scratch_load_dwordx2 v[12:13], off, off offset:44 ; 8-byte Folded Reload
	v_mad_u64_u32 v[0:1], s[6:7], s4, v10, v[0:1]
	v_add_u32_e32 v1, s2, v1
	s_waitcnt vmcnt(0)
	v_mul_f32_e32 v6, v13, v9
	v_fmac_f32_e32 v6, v12, v8
	v_cvt_f64_f32_e32 v[6:7], v6
	v_mul_f64 v[6:7], v[6:7], s[0:1]
	v_cvt_f32_f64_e32 v6, v[6:7]
	v_mul_f32_e32 v7, v13, v8
	v_fma_f32 v7, v12, v9, -v7
	v_cvt_f64_f32_e32 v[8:9], v7
	v_mul_f64 v[8:9], v[8:9], s[0:1]
	v_cvt_f32_f64_e32 v7, v[8:9]
	scratch_load_dwordx2 v[8:9], off, off offset:36 ; 8-byte Folded Reload
	s_nop 0
	global_store_dwordx2 v[0:1], v[6:7], off
	v_mad_u64_u32 v[0:1], s[6:7], s4, v10, v[0:1]
	v_add_u32_e32 v1, s2, v1
	s_waitcnt vmcnt(1)
	v_mul_f32_e32 v6, v9, v3
	v_fmac_f32_e32 v6, v8, v2
	v_mul_f32_e32 v2, v9, v2
	v_fma_f32 v2, v8, v3, -v2
	v_cvt_f64_f32_e32 v[6:7], v6
	v_cvt_f64_f32_e32 v[2:3], v2
	v_mul_f64 v[6:7], v[6:7], s[0:1]
	v_mul_f64 v[2:3], v[2:3], s[0:1]
	v_cvt_f32_f64_e32 v6, v[6:7]
	v_cvt_f32_f64_e32 v7, v[2:3]
	global_store_dwordx2 v[0:1], v[6:7], off
	scratch_load_dwordx2 v[6:7], off, off offset:28 ; 8-byte Folded Reload
	v_mad_u64_u32 v[0:1], s[6:7], s4, v10, v[0:1]
	v_add_u32_e32 v1, s2, v1
	s_waitcnt vmcnt(0)
	v_mul_f32_e32 v2, v7, v15
	v_fmac_f32_e32 v2, v6, v14
	v_cvt_f64_f32_e32 v[2:3], v2
	v_mul_f64 v[2:3], v[2:3], s[0:1]
	v_cvt_f32_f64_e32 v2, v[2:3]
	v_mul_f32_e32 v3, v7, v14
	v_fma_f32 v3, v6, v15, -v3
	v_cvt_f64_f32_e32 v[6:7], v3
	v_mul_f64 v[6:7], v[6:7], s[0:1]
	v_cvt_f32_f64_e32 v3, v[6:7]
	scratch_load_dwordx2 v[6:7], off, off offset:20 ; 8-byte Folded Reload
	s_nop 0
	global_store_dwordx2 v[0:1], v[2:3], off
	v_mad_u64_u32 v[0:1], s[6:7], s4, v10, v[0:1]
	v_add_u32_e32 v1, s2, v1
	s_waitcnt vmcnt(1)
	v_mul_f32_e32 v2, v7, v5
	v_fmac_f32_e32 v2, v6, v4
	v_cvt_f64_f32_e32 v[2:3], v2
	v_mul_f64 v[2:3], v[2:3], s[0:1]
	v_cvt_f32_f64_e32 v2, v[2:3]
	v_mul_f32_e32 v3, v7, v4
	v_fma_f32 v3, v6, v5, -v3
	v_cvt_f64_f32_e32 v[4:5], v3
	v_mul_f64 v[4:5], v[4:5], s[0:1]
	v_cvt_f32_f64_e32 v3, v[4:5]
	scratch_load_dwordx2 v[4:5], off, off offset:12 ; 8-byte Folded Reload
	scratch_load_dwordx2 v[6:7], off, off offset:4 ; 8-byte Folded Reload
	s_nop 0
	global_store_dwordx2 v[0:1], v[2:3], off
	v_mad_u64_u32 v[0:1], s[6:7], s4, v10, v[0:1]
	v_add_u32_e32 v1, s2, v1
	s_waitcnt vmcnt(2)
	v_mul_f32_e32 v2, v5, v19
	v_fmac_f32_e32 v2, v4, v18
	v_cvt_f64_f32_e32 v[2:3], v2
	v_mul_f64 v[2:3], v[2:3], s[0:1]
	v_cvt_f32_f64_e32 v2, v[2:3]
	v_mul_f32_e32 v3, v5, v18
	v_fma_f32 v3, v4, v19, -v3
	v_cvt_f64_f32_e32 v[4:5], v3
	v_mul_f64 v[4:5], v[4:5], s[0:1]
	v_cvt_f32_f64_e32 v3, v[4:5]
	ds_read_b64 v[4:5], v43 offset:4624
	global_store_dwordx2 v[0:1], v[2:3], off
	s_waitcnt vmcnt(2) lgkmcnt(0)
	v_mul_f32_e32 v2, v7, v5
	v_fmac_f32_e32 v2, v6, v4
	v_cvt_f64_f32_e32 v[2:3], v2
	v_mul_f64 v[2:3], v[2:3], s[0:1]
	v_cvt_f32_f64_e32 v2, v[2:3]
	v_mul_f32_e32 v3, v7, v4
	v_fma_f32 v3, v6, v5, -v3
	v_cvt_f64_f32_e32 v[4:5], v3
	v_mul_f64 v[4:5], v[4:5], s[0:1]
	v_mad_u64_u32 v[0:1], s[0:1], s4, v10, v[0:1]
	v_cvt_f32_f64_e32 v3, v[4:5]
	v_add_u32_e32 v1, s2, v1
	global_store_dwordx2 v[0:1], v[2:3], off
.LBB0_10:
	s_endpgm
	.section	.rodata,"a",@progbits
	.p2align	6, 0x0
	.amdhsa_kernel bluestein_single_fwd_len595_dim1_sp_op_CI_CI
		.amdhsa_group_segment_fixed_size 14280
		.amdhsa_private_segment_fixed_size 288
		.amdhsa_kernarg_size 104
		.amdhsa_user_sgpr_count 2
		.amdhsa_user_sgpr_dispatch_ptr 0
		.amdhsa_user_sgpr_queue_ptr 0
		.amdhsa_user_sgpr_kernarg_segment_ptr 1
		.amdhsa_user_sgpr_dispatch_id 0
		.amdhsa_user_sgpr_kernarg_preload_length 0
		.amdhsa_user_sgpr_kernarg_preload_offset 0
		.amdhsa_user_sgpr_private_segment_size 0
		.amdhsa_uses_dynamic_stack 0
		.amdhsa_enable_private_segment 1
		.amdhsa_system_sgpr_workgroup_id_x 1
		.amdhsa_system_sgpr_workgroup_id_y 0
		.amdhsa_system_sgpr_workgroup_id_z 0
		.amdhsa_system_sgpr_workgroup_info 0
		.amdhsa_system_vgpr_workitem_id 0
		.amdhsa_next_free_vgpr 512
		.amdhsa_next_free_sgpr 76
		.amdhsa_accum_offset 256
		.amdhsa_reserve_vcc 1
		.amdhsa_float_round_mode_32 0
		.amdhsa_float_round_mode_16_64 0
		.amdhsa_float_denorm_mode_32 3
		.amdhsa_float_denorm_mode_16_64 3
		.amdhsa_dx10_clamp 1
		.amdhsa_ieee_mode 1
		.amdhsa_fp16_overflow 0
		.amdhsa_tg_split 0
		.amdhsa_exception_fp_ieee_invalid_op 0
		.amdhsa_exception_fp_denorm_src 0
		.amdhsa_exception_fp_ieee_div_zero 0
		.amdhsa_exception_fp_ieee_overflow 0
		.amdhsa_exception_fp_ieee_underflow 0
		.amdhsa_exception_fp_ieee_inexact 0
		.amdhsa_exception_int_div_zero 0
	.end_amdhsa_kernel
	.text
.Lfunc_end0:
	.size	bluestein_single_fwd_len595_dim1_sp_op_CI_CI, .Lfunc_end0-bluestein_single_fwd_len595_dim1_sp_op_CI_CI
                                        ; -- End function
	.section	.AMDGPU.csdata,"",@progbits
; Kernel info:
; codeLenInByte = 57012
; NumSgprs: 82
; NumVgprs: 256
; NumAgprs: 256
; TotalNumVgprs: 512
; ScratchSize: 288
; MemoryBound: 0
; FloatMode: 240
; IeeeMode: 1
; LDSByteSize: 14280 bytes/workgroup (compile time only)
; SGPRBlocks: 10
; VGPRBlocks: 63
; NumSGPRsForWavesPerEU: 82
; NumVGPRsForWavesPerEU: 512
; AccumOffset: 256
; Occupancy: 1
; WaveLimiterHint : 1
; COMPUTE_PGM_RSRC2:SCRATCH_EN: 1
; COMPUTE_PGM_RSRC2:USER_SGPR: 2
; COMPUTE_PGM_RSRC2:TRAP_HANDLER: 0
; COMPUTE_PGM_RSRC2:TGID_X_EN: 1
; COMPUTE_PGM_RSRC2:TGID_Y_EN: 0
; COMPUTE_PGM_RSRC2:TGID_Z_EN: 0
; COMPUTE_PGM_RSRC2:TIDIG_COMP_CNT: 0
; COMPUTE_PGM_RSRC3_GFX90A:ACCUM_OFFSET: 63
; COMPUTE_PGM_RSRC3_GFX90A:TG_SPLIT: 0
	.text
	.p2alignl 6, 3212836864
	.fill 256, 4, 3212836864
	.type	__hip_cuid_b12f014127a0065a,@object ; @__hip_cuid_b12f014127a0065a
	.section	.bss,"aw",@nobits
	.globl	__hip_cuid_b12f014127a0065a
__hip_cuid_b12f014127a0065a:
	.byte	0                               ; 0x0
	.size	__hip_cuid_b12f014127a0065a, 1

	.ident	"AMD clang version 19.0.0git (https://github.com/RadeonOpenCompute/llvm-project roc-6.4.0 25133 c7fe45cf4b819c5991fe208aaa96edf142730f1d)"
	.section	".note.GNU-stack","",@progbits
	.addrsig
	.addrsig_sym __hip_cuid_b12f014127a0065a
	.amdgpu_metadata
---
amdhsa.kernels:
  - .agpr_count:     256
    .args:
      - .actual_access:  read_only
        .address_space:  global
        .offset:         0
        .size:           8
        .value_kind:     global_buffer
      - .actual_access:  read_only
        .address_space:  global
        .offset:         8
        .size:           8
        .value_kind:     global_buffer
      - .actual_access:  read_only
        .address_space:  global
        .offset:         16
        .size:           8
        .value_kind:     global_buffer
      - .actual_access:  read_only
        .address_space:  global
        .offset:         24
        .size:           8
        .value_kind:     global_buffer
      - .actual_access:  read_only
        .address_space:  global
        .offset:         32
        .size:           8
        .value_kind:     global_buffer
      - .offset:         40
        .size:           8
        .value_kind:     by_value
      - .address_space:  global
        .offset:         48
        .size:           8
        .value_kind:     global_buffer
      - .address_space:  global
        .offset:         56
        .size:           8
        .value_kind:     global_buffer
      - .address_space:  global
        .offset:         64
        .size:           8
        .value_kind:     global_buffer
      - .address_space:  global
        .offset:         72
        .size:           8
        .value_kind:     global_buffer
      - .offset:         80
        .size:           4
        .value_kind:     by_value
      - .address_space:  global
        .offset:         88
        .size:           8
        .value_kind:     global_buffer
      - .address_space:  global
        .offset:         96
        .size:           8
        .value_kind:     global_buffer
    .group_segment_fixed_size: 14280
    .kernarg_segment_align: 8
    .kernarg_segment_size: 104
    .language:       OpenCL C
    .language_version:
      - 2
      - 0
    .max_flat_workgroup_size: 51
    .name:           bluestein_single_fwd_len595_dim1_sp_op_CI_CI
    .private_segment_fixed_size: 288
    .sgpr_count:     82
    .sgpr_spill_count: 0
    .symbol:         bluestein_single_fwd_len595_dim1_sp_op_CI_CI.kd
    .uniform_work_group_size: 1
    .uses_dynamic_stack: false
    .vgpr_count:     512
    .vgpr_spill_count: 71
    .wavefront_size: 64
amdhsa.target:   amdgcn-amd-amdhsa--gfx950
amdhsa.version:
  - 1
  - 2
...

	.end_amdgpu_metadata
